;; amdgpu-corpus repo=ROCm/rocFFT kind=compiled arch=gfx1030 opt=O3
	.text
	.amdgcn_target "amdgcn-amd-amdhsa--gfx1030"
	.amdhsa_code_object_version 6
	.protected	bluestein_single_back_len850_dim1_half_op_CI_CI ; -- Begin function bluestein_single_back_len850_dim1_half_op_CI_CI
	.globl	bluestein_single_back_len850_dim1_half_op_CI_CI
	.p2align	8
	.type	bluestein_single_back_len850_dim1_half_op_CI_CI,@function
bluestein_single_back_len850_dim1_half_op_CI_CI: ; @bluestein_single_back_len850_dim1_half_op_CI_CI
; %bb.0:
	s_load_dwordx4 s[12:15], s[4:5], 0x28
	v_mul_u32_u24_e32 v1, 0x304, v0
	v_mov_b32_e32 v25, 0
	s_mov_b32 s0, exec_lo
	v_lshrrev_b32_e32 v1, 16, v1
	v_add_nc_u32_e32 v24, s6, v1
	s_waitcnt lgkmcnt(0)
	v_cmpx_gt_u64_e64 s[12:13], v[24:25]
	s_cbranch_execz .LBB0_10
; %bb.1:
	s_clause 0x1
	s_load_dwordx4 s[8:11], s[4:5], 0x18
	s_load_dwordx4 s[0:3], s[4:5], 0x0
	v_mul_lo_u16 v1, 0x55, v1
	s_load_dwordx2 s[4:5], s[4:5], 0x38
                                        ; implicit-def: $vgpr88
                                        ; implicit-def: $vgpr89
                                        ; implicit-def: $vgpr90
                                        ; implicit-def: $vgpr91
                                        ; implicit-def: $vgpr92
                                        ; implicit-def: $vgpr93
	v_sub_nc_u16 v8, v0, v1
	v_and_b32_e32 v54, 0xffff, v8
	v_add_nc_u16 v17, v8, 0x55
	v_lshlrev_b32_e32 v46, 2, v54
	s_waitcnt lgkmcnt(0)
	s_load_dwordx4 s[16:19], s[8:9], 0x0
	v_add_nc_u32_e32 v11, 0x400, v46
	v_add_nc_u32_e32 v10, 0x600, v46
	;; [unrolled: 1-line block ×3, first 2 shown]
	s_waitcnt lgkmcnt(0)
	v_mad_u64_u32 v[0:1], null, s18, v24, 0
	v_mad_u64_u32 v[2:3], null, s16, v54, 0
	s_mul_i32 s6, s17, 0x154
	s_mul_hi_u32 s7, s16, 0x154
	s_mul_i32 s8, s16, 0x154
	s_add_i32 s7, s7, s6
	v_add_co_u32 v57, s6, s0, v46
	v_mad_u64_u32 v[4:5], null, s19, v24, v[1:2]
	v_add_co_ci_u32_e64 v58, null, s1, 0, s6
	v_mad_u64_u32 v[5:6], null, s17, v54, v[3:4]
	v_mov_b32_e32 v1, v4
	v_lshlrev_b64 v[0:1], 2, v[0:1]
	v_mov_b32_e32 v3, v5
	v_add_co_u32 v0, vcc_lo, s14, v0
	v_lshlrev_b64 v[2:3], 2, v[2:3]
	v_add_co_ci_u32_e32 v1, vcc_lo, s15, v1, vcc_lo
	v_add_co_u32 v0, vcc_lo, v0, v2
	v_add_co_ci_u32_e32 v1, vcc_lo, v1, v3, vcc_lo
	v_add_co_u32 v2, vcc_lo, v0, s8
	v_add_co_ci_u32_e32 v3, vcc_lo, s7, v1, vcc_lo
	s_clause 0x1
	global_load_dword v1, v[0:1], off
	global_load_dword v0, v[2:3], off
	v_add_co_u32 v4, vcc_lo, v2, s8
	v_add_co_ci_u32_e32 v5, vcc_lo, s7, v3, vcc_lo
	v_add_co_u32 v2, vcc_lo, v4, s8
	v_add_co_ci_u32_e32 v3, vcc_lo, s7, v5, vcc_lo
	s_clause 0x6
	global_load_dword v56, v46, s[0:1]
	global_load_dword v55, v46, s[0:1] offset:340
	global_load_dword v53, v46, s[0:1] offset:680
	;; [unrolled: 1-line block ×6, first 2 shown]
	s_clause 0x1
	global_load_dword v6, v[4:5], off
	global_load_dword v7, v[2:3], off
	v_add_co_u32 v2, vcc_lo, v2, s8
	v_add_co_ci_u32_e32 v3, vcc_lo, s7, v3, vcc_lo
	v_add_co_u32 v25, vcc_lo, 0x800, v57
	v_add_co_ci_u32_e32 v26, vcc_lo, 0, v58, vcc_lo
	;; [unrolled: 2-line block ×3, first 2 shown]
	global_load_dword v12, v[2:3], off
	v_add_co_u32 v2, vcc_lo, v4, s8
	v_add_co_ci_u32_e32 v3, vcc_lo, s7, v5, vcc_lo
	global_load_dword v13, v[4:5], off
	v_add_co_u32 v4, vcc_lo, v2, s8
	v_add_co_ci_u32_e32 v5, vcc_lo, s7, v3, vcc_lo
	;; [unrolled: 3-line block ×4, first 2 shown]
	global_load_dword v48, v[25:26], off offset:332
	global_load_dword v2, v[2:3], off
	global_load_dword v3, v[4:5], off
	s_clause 0x1
	global_load_dword v47, v[25:26], off offset:672
	global_load_dword v45, v[25:26], off offset:1012
	v_and_b32_e32 v4, 0xff, v8
	v_and_b32_e32 v5, 0xff, v17
	s_load_dwordx4 s[8:11], s[10:11], 0x0
	v_cmp_gt_u16_e32 vcc_lo, 50, v8
	v_mul_lo_u16 v4, 0xcd, v4
	v_mul_lo_u16 v19, 0xcd, v5
	v_lshrrev_b16 v14, 11, v4
	v_mul_lo_u16 v21, v14, 10
	s_waitcnt vmcnt(19)
	v_lshrrev_b32_e32 v18, 16, v1
	s_waitcnt vmcnt(18)
	v_lshrrev_b32_e32 v20, 16, v0
	s_waitcnt vmcnt(17)
	v_mul_f16_sdwa v4, v56, v1 dst_sel:DWORD dst_unused:UNUSED_PAD src0_sel:WORD_1 src1_sel:DWORD
	s_waitcnt vmcnt(16)
	v_mul_f16_sdwa v22, v55, v0 dst_sel:DWORD dst_unused:UNUSED_PAD src0_sel:WORD_1 src1_sel:DWORD
	v_mul_f16_sdwa v5, v56, v18 dst_sel:DWORD dst_unused:UNUSED_PAD src0_sel:WORD_1 src1_sel:DWORD
	v_fma_f16 v4, v56, v18, -v4
	v_fmac_f16_e32 v5, v56, v1
	v_mul_f16_sdwa v1, v55, v20 dst_sel:DWORD dst_unused:UNUSED_PAD src0_sel:WORD_1 src1_sel:DWORD
	s_waitcnt vmcnt(10)
	v_lshrrev_b32_e32 v18, 16, v6
	v_fma_f16 v20, v55, v20, -v22
	v_mul_f16_sdwa v22, v53, v6 dst_sel:DWORD dst_unused:UNUSED_PAD src0_sel:WORD_1 src1_sel:DWORD
	v_pack_b32_f16 v4, v5, v4
	v_fmac_f16_e32 v1, v55, v0
	v_mul_f16_sdwa v0, v53, v18 dst_sel:DWORD dst_unused:UNUSED_PAD src0_sel:WORD_1 src1_sel:DWORD
	s_waitcnt vmcnt(9)
	v_lshrrev_b32_e32 v5, 16, v7
	v_fma_f16 v18, v53, v18, -v22
	v_mul_f16_sdwa v22, v52, v7 dst_sel:DWORD dst_unused:UNUSED_PAD src0_sel:WORD_1 src1_sel:DWORD
	v_pack_b32_f16 v1, v1, v20
	v_fmac_f16_e32 v0, v53, v6
	v_mul_f16_sdwa v6, v52, v5 dst_sel:DWORD dst_unused:UNUSED_PAD src0_sel:WORD_1 src1_sel:DWORD
	s_waitcnt vmcnt(8)
	v_lshrrev_b32_e32 v20, 16, v12
	v_mul_f16_sdwa v23, v51, v12 dst_sel:DWORD dst_unused:UNUSED_PAD src0_sel:WORD_1 src1_sel:DWORD
	v_fma_f16 v5, v52, v5, -v22
	v_pack_b32_f16 v0, v0, v18
	v_fmac_f16_e32 v6, v52, v7
	v_mul_f16_sdwa v7, v51, v20 dst_sel:DWORD dst_unused:UNUSED_PAD src0_sel:WORD_1 src1_sel:DWORD
	v_fma_f16 v18, v51, v20, -v23
	s_waitcnt vmcnt(7)
	v_lshrrev_b32_e32 v20, 16, v13
	v_mul_f16_sdwa v22, v50, v13 dst_sel:DWORD dst_unused:UNUSED_PAD src0_sel:WORD_1 src1_sel:DWORD
	v_pack_b32_f16 v5, v6, v5
	v_fmac_f16_e32 v7, v51, v12
	s_waitcnt vmcnt(6)
	v_lshrrev_b32_e32 v6, 16, v15
	v_mul_f16_sdwa v12, v50, v20 dst_sel:DWORD dst_unused:UNUSED_PAD src0_sel:WORD_1 src1_sel:DWORD
	v_fma_f16 v20, v50, v20, -v22
	v_mul_f16_sdwa v22, v49, v15 dst_sel:DWORD dst_unused:UNUSED_PAD src0_sel:WORD_1 src1_sel:DWORD
	v_pack_b32_f16 v7, v7, v18
	v_mul_f16_sdwa v18, v49, v6 dst_sel:DWORD dst_unused:UNUSED_PAD src0_sel:WORD_1 src1_sel:DWORD
	v_fmac_f16_e32 v12, v50, v13
	s_waitcnt vmcnt(5)
	v_lshrrev_b32_e32 v13, 16, v16
	v_fma_f16 v6, v49, v6, -v22
	s_waitcnt vmcnt(4)
	v_mul_f16_sdwa v22, v48, v16 dst_sel:DWORD dst_unused:UNUSED_PAD src0_sel:WORD_1 src1_sel:DWORD
	v_fmac_f16_e32 v18, v49, v15
	s_waitcnt vmcnt(3)
	v_lshrrev_b32_e32 v15, 16, v2
	s_waitcnt vmcnt(2)
	v_lshrrev_b32_e32 v27, 16, v3
	v_mul_f16_sdwa v23, v48, v13 dst_sel:DWORD dst_unused:UNUSED_PAD src0_sel:WORD_1 src1_sel:DWORD
	v_fma_f16 v13, v48, v13, -v22
	s_waitcnt vmcnt(1)
	v_mul_f16_sdwa v22, v47, v2 dst_sel:DWORD dst_unused:UNUSED_PAD src0_sel:WORD_1 src1_sel:DWORD
	v_mul_f16_sdwa v28, v47, v15 dst_sel:DWORD dst_unused:UNUSED_PAD src0_sel:WORD_1 src1_sel:DWORD
	s_waitcnt vmcnt(0)
	v_mul_f16_sdwa v29, v45, v3 dst_sel:DWORD dst_unused:UNUSED_PAD src0_sel:WORD_1 src1_sel:DWORD
	v_mul_f16_sdwa v30, v45, v27 dst_sel:DWORD dst_unused:UNUSED_PAD src0_sel:WORD_1 src1_sel:DWORD
	v_fmac_f16_e32 v23, v48, v16
	v_fma_f16 v15, v47, v15, -v22
	v_fmac_f16_e32 v28, v47, v2
	v_fma_f16 v2, v45, v27, -v29
	v_fmac_f16_e32 v30, v45, v3
	v_pack_b32_f16 v3, v12, v20
	v_pack_b32_f16 v6, v18, v6
	;; [unrolled: 1-line block ×5, first 2 shown]
	ds_write2_b32 v46, v4, v1 offset1:85
	ds_write2_b32 v46, v0, v5 offset0:170 offset1:255
	ds_write2_b32 v11, v7, v3 offset0:84 offset1:169
	;; [unrolled: 1-line block ×4, first 2 shown]
	s_waitcnt lgkmcnt(0)
	s_barrier
	buffer_gl0_inv
	ds_read2_b32 v[0:1], v46 offset0:170 offset1:255
	ds_read2_b32 v[2:3], v11 offset0:84 offset1:169
	;; [unrolled: 1-line block ×4, first 2 shown]
	ds_read2_b32 v[15:16], v46 offset1:85
	v_lshrrev_b16 v23, 11, v19
	v_mov_b32_e32 v18, 2
	v_mul_lo_u16 v19, v8, 10
	v_sub_nc_u16 v12, v8, v21
	s_waitcnt lgkmcnt(0)
	v_mul_lo_u16 v13, v23, 10
	s_barrier
	v_lshlrev_b32_sdwa v59, v18, v19 dst_sel:DWORD dst_unused:UNUSED_PAD src0_sel:DWORD src1_sel:WORD_0
	v_and_b32_e32 v12, 0xff, v12
	buffer_gl0_inv
	v_sub_nc_u16 v13, v17, v13
	v_lshlrev_b32_e32 v17, 4, v12
	v_and_b32_e32 v13, 0xff, v13
	v_sub_f16_e32 v39, v1, v3
	v_add_f16_e32 v18, v2, v4
	v_add_f16_e32 v27, v0, v6
	;; [unrolled: 1-line block ×3, first 2 shown]
	v_sub_f16_sdwa v37, v1, v7 dst_sel:DWORD dst_unused:UNUSED_PAD src0_sel:WORD_1 src1_sel:WORD_1
	v_add_f16_e32 v40, v1, v7
	v_sub_f16_e32 v41, v3, v1
	v_pk_add_f16 v42, v16, v1
	v_add_f16_sdwa v43, v3, v5 dst_sel:DWORD dst_unused:UNUSED_PAD src0_sel:WORD_1 src1_sel:WORD_1
	v_lshrrev_b32_e32 v44, 16, v16
	v_sub_f16_sdwa v61, v1, v3 dst_sel:DWORD dst_unused:UNUSED_PAD src0_sel:WORD_1 src1_sel:WORD_1
	v_sub_f16_sdwa v62, v3, v1 dst_sel:DWORD dst_unused:UNUSED_PAD src0_sel:WORD_1 src1_sel:WORD_1
	v_sub_f16_e32 v63, v1, v7
	v_add_f16_sdwa v1, v1, v7 dst_sel:DWORD dst_unused:UNUSED_PAD src0_sel:WORD_1 src1_sel:WORD_1
	v_sub_f16_e32 v21, v6, v4
	v_sub_f16_e32 v22, v0, v2
	;; [unrolled: 1-line block ×3, first 2 shown]
	v_pk_add_f16 v29, v15, v0
	v_add_f16_sdwa v30, v2, v4 dst_sel:DWORD dst_unused:UNUSED_PAD src0_sel:WORD_1 src1_sel:WORD_1
	v_lshrrev_b32_e32 v31, 16, v15
	v_sub_f16_sdwa v34, v0, v2 dst_sel:DWORD dst_unused:UNUSED_PAD src0_sel:WORD_1 src1_sel:WORD_1
	v_add_f16_sdwa v35, v0, v6 dst_sel:DWORD dst_unused:UNUSED_PAD src0_sel:WORD_1 src1_sel:WORD_1
	v_sub_f16_sdwa v38, v3, v5 dst_sel:DWORD dst_unused:UNUSED_PAD src0_sel:WORD_1 src1_sel:WORD_1
	v_sub_f16_e32 v60, v3, v5
	v_sub_f16_e32 v64, v4, v6
	v_sub_f16_sdwa v65, v6, v4 dst_sel:DWORD dst_unused:UNUSED_PAD src0_sel:WORD_1 src1_sel:WORD_1
	v_sub_f16_e32 v68, v5, v7
	v_sub_f16_sdwa v69, v7, v5 dst_sel:DWORD dst_unused:UNUSED_PAD src0_sel:WORD_1 src1_sel:WORD_1
	v_fma_f16 v18, -0.5, v18, v15
	v_fma_f16 v15, -0.5, v27, v15
	;; [unrolled: 1-line block ×5, first 2 shown]
	v_fmac_f16_e32 v44, -0.5, v1
	v_sub_f16_sdwa v19, v0, v6 dst_sel:DWORD dst_unused:UNUSED_PAD src0_sel:WORD_1 src1_sel:WORD_1
	v_sub_f16_sdwa v20, v2, v4 dst_sel:DWORD dst_unused:UNUSED_PAD src0_sel:WORD_1 src1_sel:WORD_1
	v_sub_f16_e32 v32, v0, v6
	v_sub_f16_e32 v33, v2, v4
	v_sub_f16_sdwa v0, v2, v0 dst_sel:DWORD dst_unused:UNUSED_PAD src0_sel:WORD_1 src1_sel:WORD_1
	v_sub_f16_e32 v67, v7, v5
	v_sub_f16_sdwa v70, v5, v7 dst_sel:DWORD dst_unused:UNUSED_PAD src0_sel:WORD_1 src1_sel:WORD_1
	v_pk_add_f16 v2, v29, v2
	v_pk_add_f16 v3, v42, v3
	v_add_f16_e32 v21, v22, v21
	v_add_f16_e32 v22, v28, v64
	;; [unrolled: 1-line block ×3, first 2 shown]
	v_fma_f16 v29, -0.5, v30, v31
	v_fmac_f16_e32 v31, -0.5, v35
	v_add_f16_e32 v34, v41, v68
	v_add_f16_e32 v35, v61, v69
	v_fmamk_f16 v41, v37, 0x3b9c, v27
	v_fmamk_f16 v42, v38, 0xbb9c, v16
	v_fmac_f16_e32 v16, 0x3b9c, v38
	v_fmamk_f16 v61, v60, 0x3b9c, v44
	v_fmac_f16_e32 v44, 0xbb9c, v60
	v_fmac_f16_e32 v27, 0xbb9c, v37
	v_fmamk_f16 v43, v63, 0xbb9c, v36
	v_fmac_f16_e32 v36, 0x3b9c, v63
	v_sub_f16_sdwa v66, v4, v6 dst_sel:DWORD dst_unused:UNUSED_PAD src0_sel:WORD_1 src1_sel:WORD_1
	v_add_f16_e32 v30, v39, v67
	v_add_f16_e32 v1, v62, v70
	v_fmamk_f16 v39, v19, 0x3b9c, v18
	v_fmac_f16_e32 v18, 0xbb9c, v19
	v_pk_add_f16 v2, v2, v4
	v_pk_add_f16 v3, v3, v5
	v_fmamk_f16 v5, v33, 0x3b9c, v31
	v_fmac_f16_e32 v31, 0xbb9c, v33
	v_fmac_f16_e32 v41, 0x38b4, v38
	;; [unrolled: 1-line block ×6, first 2 shown]
	v_fmamk_f16 v40, v20, 0xbb9c, v15
	v_fmac_f16_e32 v15, 0x3b9c, v20
	v_fmac_f16_e32 v27, 0xb8b4, v38
	;; [unrolled: 1-line block ×3, first 2 shown]
	v_add_f16_e32 v0, v0, v66
	v_fmamk_f16 v4, v32, 0xbb9c, v29
	v_fmac_f16_e32 v39, 0x38b4, v20
	v_fmac_f16_e32 v18, 0xb8b4, v20
	;; [unrolled: 1-line block ×4, first 2 shown]
	v_pk_add_f16 v2, v2, v6
	v_pk_add_f16 v3, v3, v7
	v_fmac_f16_e32 v43, 0xb8b4, v60
	v_fmac_f16_e32 v41, 0x34f2, v30
	;; [unrolled: 1-line block ×17, first 2 shown]
	v_pk_add_f16 v0, v2, v3
	v_pk_add_f16 v3, v2, v3 neg_lo:[0,1] neg_hi:[0,1]
	v_mul_f16_e32 v1, 0x3a79, v41
	v_mul_f16_e32 v2, 0x3b9c, v61
	;; [unrolled: 1-line block ×6, first 2 shown]
	v_fmac_f16_e32 v29, 0x38b4, v33
	v_fmac_f16_e32 v40, 0x34f2, v22
	;; [unrolled: 1-line block ×3, first 2 shown]
	v_mul_f16_e32 v7, 0x3a79, v27
	v_mul_f16_e32 v22, 0x3a79, v36
	v_fmac_f16_e32 v4, 0x34f2, v28
	v_fmac_f16_e32 v1, 0x38b4, v43
	;; [unrolled: 1-line block ×3, first 2 shown]
	v_fma_f16 v6, v44, 0x3b9c, -v6
	v_fmac_f16_e32 v19, 0x3a79, v43
	v_fmac_f16_e32 v20, 0x34f2, v61
	v_fma_f16 v16, v16, 0xbb9c, -v21
	v_fmac_f16_e32 v29, 0x34f2, v28
	v_fma_f16 v7, v36, 0x38b4, -v7
	v_fma_f16 v21, v27, 0xb8b4, -v22
	v_add_f16_e32 v22, v39, v1
	v_add_f16_e32 v27, v40, v2
	v_add_f16_e32 v28, v15, v6
	v_add_f16_e32 v32, v4, v19
	v_add_f16_e32 v33, v5, v20
	v_add_f16_e32 v34, v31, v16
	v_add_f16_e32 v30, v18, v7
	v_add_f16_e32 v35, v29, v21
	v_sub_f16_e32 v36, v39, v1
	v_sub_f16_e32 v2, v40, v2
	;; [unrolled: 1-line block ×8, first 2 shown]
	v_pack_b32_f16 v1, v22, v32
	v_pack_b32_f16 v5, v28, v34
	;; [unrolled: 1-line block ×8, first 2 shown]
	ds_write2_b64 v59, v[0:1], v[4:5] offset1:1
	ds_write2_b64 v59, v[2:3], v[6:7] offset0:2 offset1:3
	ds_write_b64 v59, v[15:16] offset:32
	v_lshlrev_b32_e32 v0, 4, v13
	s_waitcnt lgkmcnt(0)
	s_barrier
	buffer_gl0_inv
	s_clause 0x1
	global_load_dwordx4 v[4:7], v17, s[2:3]
	global_load_dwordx4 v[0:3], v0, s[2:3]
	ds_read2_b32 v[15:16], v46 offset0:170 offset1:255
	ds_read2_b32 v[17:18], v11 offset0:84 offset1:169
	;; [unrolled: 1-line block ×4, first 2 shown]
	v_mov_b32_e32 v29, 50
	ds_read2_b32 v[27:28], v46 offset1:85
	s_waitcnt vmcnt(0) lgkmcnt(0)
	s_barrier
	buffer_gl0_inv
	v_mul_u32_u24_sdwa v14, v14, v29 dst_sel:DWORD dst_unused:UNUSED_PAD src0_sel:WORD_0 src1_sel:DWORD
	v_mul_u32_u24_sdwa v23, v23, v29 dst_sel:DWORD dst_unused:UNUSED_PAD src0_sel:WORD_0 src1_sel:DWORD
	v_add_lshl_u32 v61, v14, v12, 2
	v_add_lshl_u32 v60, v23, v13, 2
	v_lshrrev_b32_e32 v8, 16, v15
	v_lshrrev_b32_e32 v12, 16, v17
	;; [unrolled: 1-line block ×10, first 2 shown]
	v_mul_f16_sdwa v34, v15, v4 dst_sel:DWORD dst_unused:UNUSED_PAD src0_sel:DWORD src1_sel:WORD_1
	v_mul_f16_sdwa v35, v12, v5 dst_sel:DWORD dst_unused:UNUSED_PAD src0_sel:DWORD src1_sel:WORD_1
	;; [unrolled: 1-line block ×16, first 2 shown]
	v_fmac_f16_e32 v34, v8, v4
	v_fmac_f16_e32 v36, v12, v5
	;; [unrolled: 1-line block ×3, first 2 shown]
	v_fma_f16 v8, v17, v5, -v35
	v_fma_f16 v12, v19, v6, -v37
	;; [unrolled: 1-line block ×4, first 2 shown]
	v_fmac_f16_e32 v41, v14, v7
	v_fma_f16 v13, v21, v7, -v40
	v_fma_f16 v14, v18, v1, -v43
	;; [unrolled: 1-line block ×4, first 2 shown]
	v_fmac_f16_e32 v44, v29, v1
	v_fmac_f16_e32 v63, v30, v2
	;; [unrolled: 1-line block ×4, first 2 shown]
	v_add_f16_e32 v20, v8, v12
	v_add_f16_e32 v67, v36, v39
	v_sub_f16_e32 v23, v8, v15
	v_sub_f16_e32 v37, v14, v16
	;; [unrolled: 1-line block ×5, first 2 shown]
	v_add_f16_e32 v68, v34, v41
	v_add_f16_e32 v69, v64, v34
	v_sub_f16_e32 v70, v36, v34
	v_sub_f16_e32 v87, v34, v41
	v_add_f16_e32 v34, v15, v13
	v_add_f16_e32 v29, v14, v17
	v_sub_f16_e32 v30, v16, v14
	v_sub_f16_e32 v31, v18, v17
	v_add_f16_e32 v74, v44, v63
	v_add_f16_e32 v81, v27, v15
	;; [unrolled: 1-line block ×6, first 2 shown]
	v_sub_f16_e32 v21, v15, v8
	v_sub_f16_e32 v15, v15, v13
	v_fma_f16 v35, -0.5, v20, v27
	v_fma_f16 v80, -0.5, v67, v64
	v_sub_f16_e32 v84, v8, v12
	v_sub_f16_e32 v85, v36, v39
	v_add_f16_e32 v20, v23, v43
	v_fmac_f16_e32 v64, -0.5, v68
	v_add_f16_e32 v43, v37, v38
	v_fma_f16 v38, -0.5, v34, v27
	v_sub_f16_e32 v16, v16, v18
	v_sub_f16_e32 v72, v42, v44
	;; [unrolled: 1-line block ×4, first 2 shown]
	v_add_f16_e32 v23, v30, v31
	v_fma_f16 v29, -0.5, v29, v28
	v_fma_f16 v78, -0.5, v74, v32
	v_add_f16_e32 v8, v81, v8
	v_add_f16_e32 v30, v69, v36
	v_sub_f16_e32 v40, v14, v17
	v_sub_f16_e32 v86, v44, v63
	v_add_f16_e32 v14, v19, v14
	v_fmac_f16_e32 v28, -0.5, v33
	v_fmac_f16_e32 v32, -0.5, v75
	v_add_f16_e32 v31, v76, v44
	v_sub_f16_e32 v22, v13, v12
	v_sub_f16_e32 v65, v41, v39
	v_fmamk_f16 v34, v87, 0x3b9c, v35
	v_fmamk_f16 v83, v15, 0xbb9c, v80
	v_sub_f16_e32 v71, v39, v41
	v_fmamk_f16 v37, v85, 0xbb9c, v38
	v_fmac_f16_e32 v38, 0x3b9c, v85
	v_fmamk_f16 v82, v84, 0x3b9c, v64
	v_fmac_f16_e32 v64, 0xbb9c, v84
	v_fmac_f16_e32 v35, 0xbb9c, v87
	;; [unrolled: 1-line block ×3, first 2 shown]
	v_sub_f16_e32 v73, v66, v63
	v_add_f16_e32 v8, v8, v12
	v_add_f16_e32 v12, v30, v39
	v_fmamk_f16 v30, v42, 0x3b9c, v29
	v_fmamk_f16 v27, v16, 0xbb9c, v78
	v_sub_f16_e32 v79, v63, v66
	v_add_f16_e32 v14, v14, v17
	v_add_f16_e32 v17, v31, v63
	v_fmamk_f16 v31, v86, 0xbb9c, v28
	v_fmac_f16_e32 v28, 0x3b9c, v86
	v_fmamk_f16 v81, v40, 0x3b9c, v32
	v_fmac_f16_e32 v32, 0xbb9c, v40
	v_add_f16_e32 v19, v21, v22
	v_add_f16_e32 v21, v62, v65
	v_fmac_f16_e32 v29, 0xbb9c, v42
	v_fmac_f16_e32 v78, 0x3b9c, v16
	;; [unrolled: 1-line block ×4, first 2 shown]
	v_add_f16_e32 v22, v70, v71
	v_fmac_f16_e32 v37, 0x38b4, v87
	v_fmac_f16_e32 v38, 0xb8b4, v87
	;; [unrolled: 1-line block ×6, first 2 shown]
	v_add_f16_e32 v65, v72, v73
	v_fmac_f16_e32 v30, 0x38b4, v86
	v_fmac_f16_e32 v27, 0xb8b4, v40
	v_add_f16_e32 v67, v77, v79
	v_fmac_f16_e32 v31, 0x38b4, v42
	v_fmac_f16_e32 v28, 0xb8b4, v42
	;; [unrolled: 1-line block ×4, first 2 shown]
	v_add_f16_e32 v33, v8, v13
	v_add_f16_e32 v62, v12, v41
	v_fmac_f16_e32 v29, 0xb8b4, v86
	v_fmac_f16_e32 v78, 0x38b4, v40
	;; [unrolled: 1-line block ×10, first 2 shown]
	v_add_f16_e32 v36, v14, v18
	v_add_f16_e32 v84, v17, v66
	v_fmac_f16_e32 v30, 0x34f2, v23
	v_fmac_f16_e32 v27, 0x34f2, v65
	;; [unrolled: 1-line block ×8, first 2 shown]
	v_pack_b32_f16 v8, v33, v62
	v_pack_b32_f16 v13, v34, v83
	;; [unrolled: 1-line block ×10, first 2 shown]
	ds_write2_b32 v61, v8, v13 offset1:10
	ds_write2_b32 v61, v14, v15 offset0:20 offset1:30
	ds_write_b32 v61, v16 offset:160
	ds_write2_b32 v60, v12, v17 offset1:10
	ds_write2_b32 v60, v18, v19 offset0:20 offset1:30
	ds_write_b32 v60, v20 offset:160
	s_waitcnt lgkmcnt(0)
	s_barrier
	buffer_gl0_inv
                                        ; implicit-def: $vgpr87
                                        ; implicit-def: $vgpr86
                                        ; implicit-def: $vgpr39
                                        ; implicit-def: $vgpr41
                                        ; implicit-def: $vgpr43
	s_and_saveexec_b32 s0, vcc_lo
	s_cbranch_execz .LBB0_3
; %bb.2:
	ds_read2_b32 v[33:34], v46 offset1:50
	ds_read2_b32 v[37:38], v46 offset0:100 offset1:150
	ds_read2_b32 v[35:36], v46 offset0:200 offset1:250
	ds_read2_b32 v[30:31], v11 offset0:44 offset1:94
	ds_read2_b32 v[28:29], v11 offset0:144 offset1:194
	ds_read2_b32 v[39:40], v10 offset0:116 offset1:166
	ds_read2_b32 v[41:42], v9 offset0:88 offset1:138
	ds_read2_b32 v[43:44], v9 offset0:188 offset1:238
	ds_read_b32 v86, v46 offset:3200
	s_waitcnt lgkmcnt(8)
	v_lshrrev_b32_e32 v62, 16, v33
	v_lshrrev_b32_e32 v83, 16, v34
	s_waitcnt lgkmcnt(7)
	v_lshrrev_b32_e32 v82, 16, v37
	v_lshrrev_b32_e32 v64, 16, v38
	;; [unrolled: 3-line block ×8, first 2 shown]
	s_waitcnt lgkmcnt(0)
	v_lshrrev_b32_e32 v93, 16, v86
.LBB0_3:
	s_or_b32 exec_lo, exec_lo, s0
	v_lshlrev_b32_e32 v8, 4, v54
	v_add_co_u32 v10, s0, 0xfffffce0, v8
	v_add_co_ci_u32_e64 v9, null, 0, -1, s0
	v_cndmask_b32_e32 v8, v10, v8, vcc_lo
	v_cndmask_b32_e64 v9, v9, 0, vcc_lo
	v_lshlrev_b64 v[8:9], 2, v[8:9]
	v_add_co_u32 v20, s0, s2, v8
	v_add_co_ci_u32_e64 v21, s0, s3, v9, s0
	s_clause 0x3
	global_load_dwordx4 v[16:19], v[20:21], off offset:160
	global_load_dwordx4 v[8:11], v[20:21], off offset:176
	;; [unrolled: 1-line block ×4, first 2 shown]
	s_waitcnt vmcnt(3)
	v_mul_f16_sdwa v72, v38, v18 dst_sel:DWORD dst_unused:UNUSED_PAD src0_sel:DWORD src1_sel:WORD_1
	v_mul_f16_sdwa v73, v34, v16 dst_sel:DWORD dst_unused:UNUSED_PAD src0_sel:DWORD src1_sel:WORD_1
	;; [unrolled: 1-line block ×5, first 2 shown]
	v_fmac_f16_e32 v72, v64, v18
	s_waitcnt vmcnt(0)
	v_mul_f16_sdwa v64, v86, v23 dst_sel:DWORD dst_unused:UNUSED_PAD src0_sel:DWORD src1_sel:WORD_1
	v_mul_f16_sdwa v74, v37, v17 dst_sel:DWORD dst_unused:UNUSED_PAD src0_sel:DWORD src1_sel:WORD_1
	;; [unrolled: 1-line block ×3, first 2 shown]
	v_fma_f16 v77, v38, v18, -v76
	v_fmac_f16_e32 v73, v83, v16
	v_mul_f16_sdwa v38, v44, v22 dst_sel:DWORD dst_unused:UNUSED_PAD src0_sel:DWORD src1_sel:WORD_1
	v_mul_f16_sdwa v104, v93, v23 dst_sel:DWORD dst_unused:UNUSED_PAD src0_sel:DWORD src1_sel:WORD_1
	v_fmac_f16_e32 v64, v93, v23
	v_mul_f16_sdwa v94, v80, v19 dst_sel:DWORD dst_unused:UNUSED_PAD src0_sel:DWORD src1_sel:WORD_1
	v_mul_f16_sdwa v70, v36, v8 dst_sel:DWORD dst_unused:UNUSED_PAD src0_sel:DWORD src1_sel:WORD_1
	;; [unrolled: 1-line block ×4, first 2 shown]
	v_fma_f16 v79, v37, v17, -v75
	v_fma_f16 v75, v36, v8, -v95
	v_mul_f16_sdwa v36, v43, v21 dst_sel:DWORD dst_unused:UNUSED_PAD src0_sel:DWORD src1_sel:WORD_1
	v_fmac_f16_e32 v74, v82, v17
	v_mul_f16_sdwa v95, v92, v22 dst_sel:DWORD dst_unused:UNUSED_PAD src0_sel:DWORD src1_sel:WORD_1
	v_fma_f16 v106, v34, v16, -v85
	v_fma_f16 v34, v86, v23, -v104
	v_fmac_f16_e32 v38, v92, v22
	v_sub_f16_e32 v117, v73, v64
	v_mul_f16_sdwa v71, v35, v19 dst_sel:DWORD dst_unused:UNUSED_PAD src0_sel:DWORD src1_sel:WORD_1
	v_mul_f16_sdwa v69, v30, v9 dst_sel:DWORD dst_unused:UNUSED_PAD src0_sel:DWORD src1_sel:WORD_1
	;; [unrolled: 1-line block ×6, first 2 shown]
	v_fma_f16 v76, v35, v19, -v94
	v_mul_f16_sdwa v35, v42, v20 dst_sel:DWORD dst_unused:UNUSED_PAD src0_sel:DWORD src1_sel:WORD_1
	v_mul_f16_sdwa v94, v87, v21 dst_sel:DWORD dst_unused:UNUSED_PAD src0_sel:DWORD src1_sel:WORD_1
	v_fmac_f16_e32 v68, v81, v10
	v_fma_f16 v81, v39, v13, -v100
	v_fma_f16 v39, v44, v22, -v95
	v_fmac_f16_e32 v36, v87, v21
	v_add_f16_e32 v108, v106, v34
	v_sub_f16_e32 v110, v74, v38
	v_mul_f16_e32 v150, 0xb964, v117
	v_mul_f16_e32 v162, 0xbb29, v117
	v_mul_f16_sdwa v96, v27, v9 dst_sel:DWORD dst_unused:UNUSED_PAD src0_sel:DWORD src1_sel:WORD_1
	v_mul_f16_sdwa v67, v28, v11 dst_sel:DWORD dst_unused:UNUSED_PAD src0_sel:DWORD src1_sel:WORD_1
	;; [unrolled: 1-line block ×8, first 2 shown]
	v_fmac_f16_e32 v71, v80, v19
	v_fmac_f16_e32 v69, v27, v9
	v_fma_f16 v83, v28, v11, -v98
	v_fmac_f16_e32 v65, v88, v13
	v_fma_f16 v80, v40, v14, -v101
	;; [unrolled: 2-line block ×3, first 2 shown]
	v_add_f16_e32 v88, v79, v39
	v_sub_f16_e32 v113, v72, v36
	v_mul_f16_e32 v100, 0xbbf7, v110
	v_mul_f16_e32 v104, 0xba62, v110
	v_fmamk_f16 v27, v108, 0x39e9, v150
	v_fmamk_f16 v28, v108, 0x3722, v162
	v_fmac_f16_e32 v70, v84, v8
	v_fma_f16 v85, v30, v9, -v96
	v_fma_f16 v82, v29, v12, -v99
	v_fmac_f16_e32 v66, v78, v12
	v_fma_f16 v78, v41, v15, -v102
	v_fmac_f16_e32 v37, v90, v15
	v_fma_f16 v41, v42, v20, -v103
	v_add_f16_e32 v91, v77, v40
	v_sub_f16_e32 v116, v71, v35
	v_mul_f16_e32 v99, 0xba62, v113
	v_mul_f16_e32 v102, 0x31e1, v113
	v_fmamk_f16 v29, v88, 0x2de8, v100
	v_add_f16_e32 v27, v33, v27
	v_fmamk_f16 v30, v88, 0xb8d2, v104
	v_add_f16_e32 v28, v33, v28
	v_fma_f16 v84, v31, v10, -v97
	v_fmac_f16_e32 v63, v89, v14
	v_add_f16_e32 v93, v76, v41
	v_sub_f16_e32 v118, v70, v37
	v_mul_f16_e32 v96, 0xb1e1, v116
	v_fmamk_f16 v31, v91, 0xb8d2, v99
	v_add_f16_e32 v27, v29, v27
	v_mul_f16_e32 v103, 0x3bb2, v116
	v_fmamk_f16 v29, v91, 0xbbdd, v102
	v_add_f16_e32 v28, v30, v28
	v_add_f16_e32 v94, v75, v78
	v_fmamk_f16 v30, v93, 0xbbdd, v96
	v_add_f16_e32 v27, v31, v27
	v_mul_f16_e32 v97, 0x3836, v118
	v_mul_f16_e32 v101, 0x3964, v118
	v_add_f16_e32 v28, v29, v28
	v_fmamk_f16 v29, v93, 0xb461, v103
	v_sub_f16_e32 v128, v69, v63
	v_add_f16_e32 v27, v30, v27
	v_fmamk_f16 v30, v94, 0xbacd, v97
	v_add_f16_e32 v95, v85, v80
	v_add_f16_e32 v28, v29, v28
	v_fmamk_f16 v29, v94, 0x39e9, v101
	v_mul_f16_e32 v107, 0x3bb2, v128
	v_add_f16_e32 v27, v30, v27
	v_mul_f16_e32 v109, 0xb5c8, v128
	v_sub_f16_e32 v137, v68, v65
	v_add_f16_e32 v28, v29, v28
	v_fmamk_f16 v29, v95, 0xb461, v107
	v_fmac_f16_e32 v67, v32, v11
	v_add_f16_e32 v98, v84, v81
	v_mul_f16_e32 v111, 0x3b29, v137
	v_mul_f16_e32 v112, 0xbbf7, v137
	v_add_f16_e32 v27, v29, v27
	v_fmamk_f16 v29, v95, 0x3b76, v109
	v_sub_f16_e32 v138, v67, v66
	v_add_f16_e32 v105, v83, v82
	v_mul_f16_e32 v202, 0xbbf7, v117
	v_mul_f16_e32 v125, 0xb1e1, v110
	v_add_f16_e32 v28, v29, v28
	v_fmamk_f16 v29, v98, 0x3722, v111
	v_mul_f16_e32 v114, 0x35c8, v138
	v_mul_f16_e32 v115, 0xb836, v138
	v_mul_f16_e32 v209, 0xbbb2, v117
	v_mul_f16_e32 v134, 0x3836, v110
	v_add_f16_e32 v27, v29, v27
	v_fmamk_f16 v29, v98, 0x2de8, v112
	v_mul_f16_e32 v126, 0x3bb2, v113
	v_mul_f16_e32 v133, 0x3964, v113
	;; [unrolled: 6-line block ×3, first 2 shown]
	v_mul_f16_e32 v122, 0xb836, v128
	v_mul_f16_e32 v130, 0x3bf7, v128
	v_add_f16_e32 v32, v29, v27
	v_fmamk_f16 v27, v105, 0xbacd, v115
	v_fmamk_f16 v29, v88, 0xbacd, v134
	v_mul_f16_e32 v121, 0x3a62, v137
	v_mul_f16_e32 v129, 0xb5c8, v137
	;; [unrolled: 1-line block ×3, first 2 shown]
	v_add_f16_e32 v31, v27, v28
	v_fmamk_f16 v27, v108, 0x2de8, v202
	v_fmamk_f16 v28, v88, 0xbbdd, v125
	v_mul_f16_e32 v127, 0xba62, v138
	v_mul_f16_e32 v219, 0xba62, v117
	;; [unrolled: 1-line block ×3, first 2 shown]
	v_add_f16_e32 v27, v33, v27
	v_mul_f16_e32 v226, 0xb836, v117
	v_mul_f16_e32 v160, 0x3b29, v110
	;; [unrolled: 1-line block ×4, first 2 shown]
	v_add_f16_e32 v27, v28, v27
	v_fmamk_f16 v28, v108, 0xb461, v209
	v_fmamk_f16 v42, v88, 0x3722, v160
	v_mul_f16_e32 v144, 0xb836, v116
	v_mul_f16_e32 v153, 0x3a62, v116
	;; [unrolled: 1-line block ×3, first 2 shown]
	v_add_f16_e32 v28, v33, v28
	v_mul_f16_e32 v159, 0xb5c8, v118
	v_mul_f16_e32 v143, 0xb964, v128
	;; [unrolled: 1-line block ×4, first 2 shown]
	v_add_f16_e32 v28, v29, v28
	v_fmamk_f16 v29, v91, 0xb461, v126
	v_mul_f16_e32 v155, 0x3964, v137
	v_mul_f16_e32 v141, 0x3b29, v138
	;; [unrolled: 1-line block ×4, first 2 shown]
	v_add_f16_e32 v27, v29, v27
	v_fmamk_f16 v29, v91, 0x39e9, v133
	v_mul_f16_e32 v119, 0xb964, v110
	v_sub_f16_e32 v192, v106, v34
	v_add_f16_e32 v135, v73, v64
	v_sub_f16_e32 v193, v79, v39
	v_add_f16_e32 v28, v29, v28
	v_fmamk_f16 v29, v93, 0x3b76, v124
	v_fmamk_f16 v43, v88, 0x39e9, v119
	v_mul_f16_e32 v139, 0xb5c8, v192
	v_add_f16_e32 v136, v74, v38
	v_mul_f16_e32 v140, 0xb964, v193
	v_add_f16_e32 v27, v29, v27
	v_fmamk_f16 v29, v93, 0x3722, v132
	v_mul_f16_e32 v157, 0xb964, v192
	v_mul_f16_e32 v152, 0xbbf7, v193
	v_fma_f16 v44, v136, 0x39e9, -v140
	v_mul_f16_e32 v168, 0xbb29, v192
	v_add_f16_e32 v28, v29, v28
	v_fmamk_f16 v29, v94, 0x3722, v123
	v_fma_f16 v86, v136, 0x2de8, -v152
	v_mul_f16_e32 v167, 0xba62, v193
	v_mul_f16_e32 v174, 0xbbf7, v192
	;; [unrolled: 1-line block ×3, first 2 shown]
	v_add_f16_e32 v27, v29, v27
	v_fmamk_f16 v29, v94, 0xbbdd, v131
	v_fma_f16 v87, v136, 0xb8d2, -v167
	v_mul_f16_e32 v181, 0xbbb2, v192
	v_fma_f16 v89, v136, 0xbbdd, -v173
	v_mul_f16_e32 v180, 0x3836, v193
	v_add_f16_e32 v28, v29, v28
	v_fmamk_f16 v29, v95, 0xbacd, v122
	v_mul_f16_e32 v187, 0xba62, v192
	v_mul_f16_e32 v186, 0x3bb2, v193
	v_fma_f16 v90, v136, 0xbacd, -v180
	v_mul_f16_e32 v198, 0xb836, v192
	v_add_f16_e32 v27, v29, v27
	v_fmamk_f16 v29, v95, 0x2de8, v130
	v_fma_f16 v92, v136, 0xb461, -v186
	v_mul_f16_e32 v197, 0x3b29, v193
	v_mul_f16_e32 v148, 0xbb29, v113
	v_sub_f16_e32 v206, v77, v40
	v_add_f16_e32 v28, v29, v28
	v_fmamk_f16 v29, v98, 0xb8d2, v121
	v_fma_f16 v145, v136, 0x3722, -v197
	v_mul_f16_e32 v163, 0xbbf7, v116
	v_mul_f16_e32 v161, 0xbb29, v206
	v_mul_f16_e32 v169, 0xba62, v206
	v_add_f16_e32 v27, v29, v27
	v_fmamk_f16 v29, v98, 0x3b76, v129
	v_mul_f16_e32 v177, 0x31e1, v206
	v_mul_f16_e32 v183, 0x3bb2, v206
	;; [unrolled: 1-line block ×4, first 2 shown]
	v_add_f16_e32 v28, v29, v28
	v_fmamk_f16 v29, v105, 0x39e9, v120
	v_mul_f16_e32 v205, 0xbbf7, v206
	v_sub_f16_e32 v212, v76, v41
	v_mul_f16_e32 v165, 0xbbb2, v118
	v_sub_f16_e32 v216, v75, v78
	v_add_f16_e32 v30, v29, v27
	v_fmamk_f16 v27, v105, 0xb8d2, v127
	v_mul_f16_e32 v166, 0xbbf7, v212
	v_mul_f16_e32 v175, 0xb1e1, v212
	;; [unrolled: 1-line block ×4, first 2 shown]
	v_add_f16_e32 v29, v27, v28
	v_fmamk_f16 v27, v108, 0xb8d2, v219
	v_fmamk_f16 v28, v88, 0xb461, v147
	v_mul_f16_e32 v196, 0xbb29, v212
	v_mul_f16_e32 v204, 0xb836, v212
	;; [unrolled: 1-line block ×3, first 2 shown]
	v_add_f16_e32 v27, v33, v27
	v_mul_f16_e32 v171, 0xbbb2, v216
	v_mul_f16_e32 v182, 0x3836, v216
	;; [unrolled: 1-line block ×4, first 2 shown]
	v_add_f16_e32 v27, v28, v27
	v_fmamk_f16 v28, v108, 0xbacd, v226
	v_mul_f16_e32 v203, 0xb1e1, v216
	v_mul_f16_e32 v210, 0x3bf7, v216
	;; [unrolled: 1-line block ×4, first 2 shown]
	v_add_f16_e32 v28, v33, v28
	v_sub_f16_e32 v221, v85, v80
	v_mul_f16_e32 v178, 0xb836, v137
	v_sub_f16_e32 v224, v84, v81
	v_mul_f16_e32 v222, 0xb1e1, v138
	v_add_f16_e32 v28, v42, v28
	v_fmamk_f16 v42, v91, 0x3b76, v149
	v_mul_f16_e32 v179, 0xba62, v221
	v_mul_f16_e32 v185, 0x3bb2, v221
	v_mul_f16_e32 v195, 0xb5c8, v221
	v_mul_f16_e32 v201, 0xb836, v221
	v_add_f16_e32 v27, v42, v27
	v_fmamk_f16 v42, v91, 0x2de8, v158
	v_mul_f16_e32 v208, 0x3bf7, v221
	v_mul_f16_e32 v213, 0xb964, v221
	v_mul_f16_e32 v218, 0xb1e1, v221
	v_mul_f16_e32 v200, 0xb836, v224
	v_add_f16_e32 v28, v42, v28
	v_fmamk_f16 v42, v93, 0xbacd, v144
	v_mul_f16_e32 v223, 0xb5c8, v224
	v_mul_f16_e32 v231, 0xb1e1, v224
	v_mul_f16_e32 v233, 0x3964, v224
	v_sub_f16_e32 v234, v83, v82
	v_add_f16_e32 v27, v42, v27
	v_fmamk_f16 v42, v93, 0xb8d2, v153
	v_mul_f16_e32 v225, 0xb1e1, v234
	v_mul_f16_e32 v227, 0x35c8, v234
	v_add_f16_e32 v28, v42, v28
	v_fmamk_f16 v42, v94, 0x2de8, v146
	v_mul_f16_e32 v228, 0xb836, v234
	v_mul_f16_e32 v229, 0x3964, v234
	v_add_f16_e32 v27, v42, v27
	v_fmamk_f16 v42, v94, 0x3b76, v159
	v_add_f16_e32 v28, v42, v28
	v_fmamk_f16 v42, v95, 0x39e9, v143
	;; [unrolled: 2-line block ×8, first 2 shown]
	v_add_f16_e32 v42, v33, v42
	v_add_f16_e32 v42, v43, v42
	v_fma_f16 v43, v135, 0x3b76, -v139
	v_add_f16_e32 v43, v62, v43
	v_add_f16_e32 v43, v44, v43
	v_fma_f16 v44, v135, 0x39e9, -v157
	;; [unrolled: 3-line block ×7, first 2 shown]
	v_add_f16_e32 v92, v62, v92
	v_add_f16_e32 v92, v145, v92
	v_fmamk_f16 v145, v91, 0x3722, v148
	v_add_f16_e32 v42, v145, v42
	v_add_f16_e32 v145, v72, v36
	v_fma_f16 v151, v145, 0x3722, -v161
	v_add_f16_e32 v43, v151, v43
	v_fma_f16 v151, v145, 0xb8d2, -v169
	v_add_f16_e32 v44, v151, v44
	v_fma_f16 v151, v145, 0xbbdd, -v177
	v_add_f16_e32 v86, v151, v86
	v_fma_f16 v151, v145, 0xb461, -v183
	v_add_f16_e32 v87, v151, v87
	v_fma_f16 v151, v145, 0x39e9, -v190
	v_add_f16_e32 v89, v151, v89
	v_fma_f16 v151, v145, 0x3b76, -v199
	v_add_f16_e32 v90, v151, v90
	v_fma_f16 v151, v145, 0x2de8, -v205
	v_add_f16_e32 v92, v151, v92
	v_fmamk_f16 v151, v93, 0x2de8, v163
	v_add_f16_e32 v42, v151, v42
	v_add_f16_e32 v151, v71, v35
	v_fma_f16 v164, v151, 0x2de8, -v166
	v_add_f16_e32 v43, v164, v43
	v_fma_f16 v164, v151, 0xbbdd, -v175
	v_add_f16_e32 v44, v164, v44
	v_fma_f16 v164, v151, 0xb461, -v184
	v_add_f16_e32 v86, v164, v86
	v_fma_f16 v164, v151, 0x3b76, -v188
	v_add_f16_e32 v87, v164, v87
	v_fma_f16 v164, v151, 0x3722, -v196
	v_add_f16_e32 v89, v164, v89
	v_fma_f16 v164, v151, 0xbacd, -v204
	v_add_f16_e32 v90, v164, v90
	v_fma_f16 v164, v151, 0xb8d2, -v211
	;; [unrolled: 17-line block ×4, first 2 shown]
	v_add_f16_e32 v92, v176, v92
	v_fmamk_f16 v176, v98, 0xbacd, v178
	v_add_f16_e32 v42, v176, v42
	v_add_f16_e32 v176, v68, v65
	v_fma_f16 v207, v176, 0xbacd, -v200
	v_add_f16_e32 v43, v207, v43
	v_mul_f16_e32 v207, 0x3b29, v224
	v_fma_f16 v214, v176, 0x3722, -v207
	v_add_f16_e32 v44, v214, v44
	v_mul_f16_e32 v214, 0xbbf7, v224
	;; [unrolled: 3-line block ×3, first 2 shown]
	v_fma_f16 v220, v176, 0xb8d2, -v217
	v_add_f16_e32 v230, v220, v87
	v_fma_f16 v87, v176, 0x3b76, -v223
	v_add_f16_e32 v220, v67, v66
	v_add_f16_e32 v232, v87, v89
	v_fma_f16 v87, v176, 0xbbdd, -v231
	v_add_f16_e32 v235, v87, v90
	v_fma_f16 v87, v176, 0x39e9, -v233
	v_add_f16_e32 v236, v87, v92
	v_fmamk_f16 v87, v105, 0xbbdd, v222
	v_add_f16_e32 v87, v87, v42
	v_fma_f16 v42, v220, 0xbbdd, -v225
	v_add_f16_e32 v92, v42, v43
	v_fma_f16 v42, v220, 0x3b76, -v227
	;; [unrolled: 2-line block ×4, first 2 shown]
	v_add_f16_e32 v86, v42, v230
	v_mul_f16_e32 v230, 0xba62, v234
	v_fma_f16 v42, v220, 0xb8d2, -v230
	v_add_f16_e32 v44, v42, v232
	v_mul_f16_e32 v232, 0x3b29, v234
	v_fma_f16 v42, v220, 0x3722, -v232
	;; [unrolled: 3-line block ×3, first 2 shown]
	v_add_f16_e32 v42, v42, v236
	s_and_saveexec_b32 s0, vcc_lo
	s_cbranch_execz .LBB0_5
; %bb.4:
	v_mul_f16_e32 v236, 0xbacd, v108
	v_mul_f16_e32 v117, 0xb1e1, v117
	v_add_f16_e32 v106, v33, v106
	v_mul_f16_e32 v206, 0xb836, v206
	v_mul_f16_e32 v212, 0x3964, v212
	v_sub_f16_e32 v226, v236, v226
	v_mul_f16_e32 v236, 0xb8d2, v108
	v_mul_f16_e32 v216, 0xba62, v216
	;; [unrolled: 1-line block ×4, first 2 shown]
	v_add_f16_e32 v226, v33, v226
	v_sub_f16_e32 v219, v236, v219
	v_mul_f16_e32 v236, 0xb461, v108
	v_mul_f16_e32 v113, 0xb836, v113
	;; [unrolled: 1-line block ×4, first 2 shown]
	v_add_f16_e32 v219, v33, v219
	v_sub_f16_e32 v209, v236, v209
	v_mul_f16_e32 v236, 0x2de8, v108
	v_mul_f16_e32 v128, 0x3b29, v128
	v_add_f16_e32 v73, v62, v73
	v_add_f16_e32 v79, v106, v79
	;; [unrolled: 1-line block ×3, first 2 shown]
	v_sub_f16_e32 v202, v236, v202
	v_mul_f16_e32 v236, 0x3722, v108
	v_add_f16_e32 v73, v73, v74
	v_add_f16_e32 v77, v79, v77
	v_mul_f16_e32 v79, 0x2de8, v93
	v_add_f16_e32 v202, v33, v202
	v_sub_f16_e32 v162, v236, v162
	v_mul_f16_e32 v236, 0x39e9, v108
	v_add_f16_e32 v72, v73, v72
	v_mul_f16_e32 v73, 0xb461, v164
	v_sub_f16_e32 v79, v79, v163
	v_add_f16_e32 v162, v33, v162
	v_sub_f16_e32 v150, v236, v150
	v_mul_f16_e32 v236, 0x3b76, v108
	v_add_f16_e32 v73, v171, v73
	v_add_f16_e32 v71, v72, v71
	;; [unrolled: 1-line block ×4, first 2 shown]
	v_sub_f16_e32 v191, v236, v191
	v_fma_f16 v236, v108, 0xbbdd, -v117
	v_fmac_f16_e32 v117, 0xbbdd, v108
	v_add_f16_e32 v70, v71, v70
	v_mul_f16_e32 v71, 0xb461, v94
	v_add_f16_e32 v191, v33, v191
	v_add_f16_e32 v108, v33, v236
	;; [unrolled: 1-line block ×3, first 2 shown]
	v_mul_f16_e32 v117, 0xb1e1, v192
	v_mul_f16_e32 v192, 0x35c8, v193
	v_add_f16_e32 v75, v76, v75
	v_sub_f16_e32 v71, v71, v165
	v_add_f16_e32 v69, v70, v69
	v_fmamk_f16 v193, v135, 0xbbdd, v117
	v_fmamk_f16 v236, v136, 0x3b76, v192
	v_add_f16_e32 v75, v75, v85
	v_mul_f16_e32 v137, 0xbbb2, v137
	v_add_f16_e32 v68, v69, v68
	v_add_f16_e32 v193, v62, v193
	v_mul_f16_e32 v69, 0xbbdd, v220
	v_mul_f16_e32 v138, 0x3bf7, v138
	v_add_f16_e32 v67, v68, v67
	v_add_f16_e32 v193, v236, v193
	v_fmamk_f16 v236, v145, 0xbacd, v206
	v_add_f16_e32 v69, v225, v69
	v_fma_f16 v68, v135, 0xbbdd, -v117
	v_add_f16_e32 v66, v67, v66
	v_fma_f16 v67, v136, 0x3b76, -v192
	v_add_f16_e32 v193, v236, v193
	v_fmamk_f16 v236, v151, 0x39e9, v212
	v_add_f16_e32 v65, v66, v65
	v_fma_f16 v66, v145, 0xbacd, -v206
	v_add_f16_e32 v193, v236, v193
	v_fmamk_f16 v236, v164, 0xb8d2, v216
	;; [unrolled: 4-line block ×3, first 2 shown]
	v_add_f16_e32 v37, v63, v37
	v_fma_f16 v63, v164, 0xb8d2, -v216
	v_add_f16_e32 v193, v236, v193
	v_mul_f16_e32 v236, 0xbacd, v135
	v_add_f16_e32 v35, v37, v35
	v_add_f16_e32 v198, v198, v236
	v_fma_f16 v236, v88, 0x3b76, -v110
	v_fmac_f16_e32 v110, 0x3b76, v88
	v_add_f16_e32 v35, v35, v36
	v_add_f16_e32 v198, v62, v198
	v_add_f16_e32 v108, v236, v108
	v_mul_f16_e32 v236, 0x3722, v136
	v_add_f16_e32 v33, v110, v33
	v_add_f16_e32 v35, v35, v38
	;; [unrolled: 1-line block ×3, first 2 shown]
	v_fma_f16 v236, v91, 0xbacd, -v113
	v_fmac_f16_e32 v113, 0xbacd, v91
	v_add_f16_e32 v35, v35, v64
	v_perm_b32 v64, v92, v87, 0x5040100
	v_add_f16_e32 v197, v197, v198
	v_mul_f16_e32 v198, 0x2de8, v145
	v_add_f16_e32 v108, v236, v108
	v_add_f16_e32 v33, v113, v33
	;; [unrolled: 1-line block ×3, first 2 shown]
	v_mul_f16_e32 v205, 0xbbb2, v224
	v_add_f16_e32 v197, v198, v197
	v_mul_f16_e32 v198, 0xb8d2, v151
	v_fmamk_f16 v224, v176, 0xb461, v205
	v_add_f16_e32 v198, v211, v198
	v_add_f16_e32 v193, v224, v193
	v_fma_f16 v224, v93, 0x39e9, -v116
	v_fma_f16 v211, v94, 0xb8d2, -v118
	v_fmac_f16_e32 v116, 0x39e9, v93
	v_add_f16_e32 v197, v198, v197
	v_mul_f16_e32 v198, 0x3b76, v164
	v_add_f16_e32 v108, v224, v108
	v_fmac_f16_e32 v118, 0xb8d2, v94
	v_add_f16_e32 v33, v116, v33
	v_add_f16_e32 v198, v215, v198
	;; [unrolled: 1-line block ×3, first 2 shown]
	v_fma_f16 v211, v95, 0x3722, -v128
	v_add_f16_e32 v33, v118, v33
	v_fmac_f16_e32 v128, 0x3722, v95
	v_add_f16_e32 v197, v198, v197
	v_mul_f16_e32 v198, 0xbbdd, v170
	v_add_f16_e32 v108, v211, v108
	v_mul_f16_e32 v211, 0x3bf7, v234
	v_add_f16_e32 v33, v128, v33
	v_add_f16_e32 v198, v218, v198
	v_fmamk_f16 v215, v220, 0x2de8, v211
	v_add_f16_e32 v197, v198, v197
	v_mul_f16_e32 v198, 0x39e9, v176
	v_add_f16_e32 v193, v215, v193
	v_mul_f16_e32 v215, 0x3722, v88
	v_add_f16_e32 v198, v233, v198
	v_sub_f16_e32 v160, v215, v160
	v_fma_f16 v215, v98, 0xb461, -v137
	v_fmac_f16_e32 v137, 0xb461, v98
	v_add_f16_e32 v197, v198, v197
	v_mul_f16_e32 v198, 0x2de8, v91
	v_add_f16_e32 v160, v160, v226
	v_add_f16_e32 v108, v215, v108
	;; [unrolled: 1-line block ×3, first 2 shown]
	v_sub_f16_e32 v158, v198, v158
	v_mul_f16_e32 v198, 0xb461, v220
	v_add_f16_e32 v158, v158, v160
	v_mul_f16_e32 v160, 0xb8d2, v135
	v_add_f16_e32 v198, v235, v198
	v_add_f16_e32 v160, v187, v160
	v_mul_f16_e32 v187, 0xb8d2, v93
	v_sub_f16_e32 v153, v187, v153
	v_mul_f16_e32 v187, 0xb461, v136
	v_add_f16_e32 v153, v153, v158
	v_mul_f16_e32 v158, 0x3b76, v94
	v_add_f16_e32 v186, v186, v187
	v_sub_f16_e32 v158, v158, v159
	v_add_f16_e32 v159, v62, v160
	v_mul_f16_e32 v160, 0x3b76, v145
	v_add_f16_e32 v153, v158, v153
	v_mul_f16_e32 v158, 0xbbdd, v95
	v_add_f16_e32 v159, v186, v159
	v_add_f16_e32 v160, v199, v160
	v_sub_f16_e32 v154, v158, v154
	v_add_f16_e32 v158, v160, v159
	v_mul_f16_e32 v159, 0xbacd, v151
	v_add_f16_e32 v153, v154, v153
	v_mul_f16_e32 v154, 0x39e9, v98
	v_add_f16_e32 v159, v204, v159
	v_sub_f16_e32 v154, v154, v155
	v_add_f16_e32 v155, v159, v158
	v_mul_f16_e32 v158, 0x2de8, v164
	v_add_f16_e32 v153, v154, v153
	v_mul_f16_e32 v154, 0xb461, v105
	v_add_f16_e32 v158, v210, v158
	v_sub_f16_e32 v154, v154, v156
	v_mul_f16_e32 v156, 0x39e9, v170
	v_add_f16_e32 v155, v158, v155
	v_mul_f16_e32 v158, 0xb461, v88
	v_add_f16_e32 v153, v154, v153
	v_add_f16_e32 v156, v213, v156
	v_sub_f16_e32 v147, v158, v147
	v_mul_f16_e32 v158, 0x3b76, v91
	v_add_f16_e32 v155, v156, v155
	v_mul_f16_e32 v156, 0xbbdd, v176
	v_add_f16_e32 v147, v147, v219
	v_sub_f16_e32 v149, v158, v149
	v_fma_f16 v158, v105, 0x2de8, -v138
	v_fmac_f16_e32 v138, 0x2de8, v105
	v_add_f16_e32 v156, v231, v156
	v_add_f16_e32 v147, v149, v147
	v_mul_f16_e32 v149, 0xb461, v135
	v_add_f16_e32 v108, v158, v108
	v_add_f16_e32 v154, v156, v155
	v_mul_f16_e32 v155, 0xbacd, v93
	v_add_f16_e32 v158, v198, v197
	v_add_f16_e32 v149, v181, v149
	;; [unrolled: 1-line block ×3, first 2 shown]
	v_sub_f16_e32 v144, v155, v144
	v_mul_f16_e32 v155, 0xbacd, v136
	v_add_f16_e32 v144, v144, v147
	v_mul_f16_e32 v147, 0x2de8, v94
	v_add_f16_e32 v155, v180, v155
	v_sub_f16_e32 v146, v147, v146
	v_add_f16_e32 v147, v62, v149
	v_mul_f16_e32 v149, 0x39e9, v145
	v_add_f16_e32 v144, v146, v144
	v_add_f16_e32 v147, v155, v147
	;; [unrolled: 1-line block ×3, first 2 shown]
	v_mul_f16_e32 v146, 0x39e9, v95
	v_mul_f16_e32 v155, 0x3722, v220
	v_sub_f16_e32 v143, v146, v143
	v_add_f16_e32 v146, v149, v147
	v_mul_f16_e32 v147, 0x3722, v151
	v_add_f16_e32 v155, v232, v155
	v_add_f16_e32 v143, v143, v144
	v_mul_f16_e32 v144, 0xbbdd, v98
	v_add_f16_e32 v147, v196, v147
	v_add_f16_e32 v149, v155, v154
	v_sub_f16_e32 v142, v144, v142
	v_add_f16_e32 v144, v147, v146
	v_mul_f16_e32 v146, 0xbbdd, v164
	v_mul_f16_e32 v147, 0xbacd, v88
	v_add_f16_e32 v142, v142, v143
	v_mul_f16_e32 v143, 0x3722, v105
	v_add_f16_e32 v146, v203, v146
	v_sub_f16_e32 v134, v147, v134
	v_sub_f16_e32 v141, v143, v141
	v_add_f16_e32 v143, v146, v144
	v_mul_f16_e32 v146, 0x39e9, v91
	v_add_f16_e32 v134, v134, v209
	v_mul_f16_e32 v144, 0x2de8, v170
	v_add_f16_e32 v141, v141, v142
	v_mul_f16_e32 v142, 0x2de8, v135
	v_sub_f16_e32 v133, v146, v133
	v_add_f16_e32 v144, v208, v144
	v_add_f16_e32 v142, v174, v142
	;; [unrolled: 1-line block ×3, first 2 shown]
	v_mul_f16_e32 v134, 0x3722, v93
	v_add_f16_e32 v143, v144, v143
	v_mul_f16_e32 v144, 0x3b76, v176
	v_sub_f16_e32 v132, v134, v132
	v_mul_f16_e32 v134, 0xbbdd, v136
	v_add_f16_e32 v144, v223, v144
	v_add_f16_e32 v132, v132, v133
	v_mul_f16_e32 v133, 0xbbdd, v94
	v_add_f16_e32 v134, v173, v134
	v_add_f16_e32 v143, v144, v143
	v_mul_f16_e32 v144, 0xb8d2, v220
	v_sub_f16_e32 v131, v133, v131
	v_add_f16_e32 v133, v62, v142
	v_add_f16_e32 v144, v230, v144
	;; [unrolled: 1-line block ×4, first 2 shown]
	v_mul_f16_e32 v134, 0xb461, v145
	v_mul_f16_e32 v132, 0x2de8, v95
	v_add_f16_e32 v142, v144, v143
	v_add_f16_e32 v134, v183, v134
	v_sub_f16_e32 v130, v132, v130
	v_add_f16_e32 v132, v134, v133
	v_mul_f16_e32 v133, 0x3b76, v151
	v_mul_f16_e32 v134, 0xbbdd, v88
	v_add_f16_e32 v130, v130, v131
	v_mul_f16_e32 v131, 0x3b76, v98
	v_add_f16_e32 v133, v188, v133
	v_sub_f16_e32 v125, v134, v125
	v_mul_f16_e32 v134, 0xb8d2, v136
	v_sub_f16_e32 v129, v131, v129
	v_mul_f16_e32 v131, 0x3722, v135
	v_add_f16_e32 v132, v133, v132
	v_mul_f16_e32 v133, 0xb461, v91
	v_add_f16_e32 v125, v125, v202
	v_add_f16_e32 v134, v167, v134
	v_add_f16_e32 v131, v168, v131
	v_add_f16_e32 v129, v129, v130
	v_sub_f16_e32 v126, v133, v126
	v_mul_f16_e32 v133, 0x3722, v164
	v_add_f16_e32 v130, v62, v131
	v_mul_f16_e32 v131, 0xbbdd, v145
	v_add_f16_e32 v125, v126, v125
	;; [unrolled: 2-line block ×3, first 2 shown]
	v_add_f16_e32 v130, v134, v130
	v_add_f16_e32 v131, v177, v131
	v_sub_f16_e32 v124, v126, v124
	v_add_f16_e32 v126, v133, v132
	v_mul_f16_e32 v132, 0xbacd, v170
	v_add_f16_e32 v124, v124, v125
	v_mul_f16_e32 v125, 0x3722, v94
	v_add_f16_e32 v132, v201, v132
	v_sub_f16_e32 v123, v125, v123
	v_mul_f16_e32 v125, 0xb8d2, v105
	v_add_f16_e32 v126, v132, v126
	v_add_f16_e32 v123, v123, v124
	v_mul_f16_e32 v124, 0xbacd, v95
	v_sub_f16_e32 v125, v125, v127
	v_add_f16_e32 v127, v131, v130
	v_mul_f16_e32 v130, 0xb461, v151
	v_sub_f16_e32 v122, v124, v122
	v_mul_f16_e32 v124, 0xb8d2, v176
	v_add_f16_e32 v125, v125, v129
	v_add_f16_e32 v130, v184, v130
	;; [unrolled: 1-line block ×3, first 2 shown]
	v_mul_f16_e32 v123, 0xb8d2, v98
	v_add_f16_e32 v124, v217, v124
	v_add_f16_e32 v127, v130, v127
	v_mul_f16_e32 v130, 0x39e9, v164
	v_sub_f16_e32 v121, v123, v121
	v_add_f16_e32 v123, v124, v126
	v_mul_f16_e32 v126, 0x3b76, v170
	v_add_f16_e32 v130, v189, v130
	v_add_f16_e32 v121, v121, v122
	v_mul_f16_e32 v122, 0x39e9, v105
	v_add_f16_e32 v126, v195, v126
	v_add_f16_e32 v124, v130, v127
	v_mul_f16_e32 v127, 0x39e9, v220
	v_sub_f16_e32 v120, v122, v120
	v_add_f16_e32 v122, v126, v124
	v_mul_f16_e32 v124, 0x2de8, v176
	v_mul_f16_e32 v126, 0xbbdd, v91
	v_add_f16_e32 v120, v120, v121
	v_mul_f16_e32 v121, 0xb8d2, v88
	v_add_f16_e32 v127, v229, v127
	v_add_f16_e32 v124, v214, v124
	v_sub_f16_e32 v102, v126, v102
	v_mul_f16_e32 v126, 0x2de8, v136
	v_sub_f16_e32 v104, v121, v104
	v_add_f16_e32 v123, v127, v123
	v_add_f16_e32 v121, v124, v122
	v_mul_f16_e32 v122, 0x39e9, v135
	v_add_f16_e32 v126, v152, v126
	v_add_f16_e32 v104, v104, v162
	v_mul_f16_e32 v127, 0x2de8, v88
	v_mul_f16_e32 v124, 0xbacd, v220
	v_add_f16_e32 v122, v157, v122
	v_add_f16_e32 v102, v102, v104
	v_mul_f16_e32 v104, 0xb461, v93
	v_sub_f16_e32 v100, v127, v100
	v_add_f16_e32 v124, v228, v124
	v_sub_f16_e32 v103, v104, v103
	v_add_f16_e32 v104, v62, v122
	v_mul_f16_e32 v122, 0xb8d2, v145
	v_add_f16_e32 v100, v100, v150
	v_add_f16_e32 v102, v103, v102
	;; [unrolled: 1-line block ×3, first 2 shown]
	v_mul_f16_e32 v126, 0xb8d2, v91
	v_add_f16_e32 v122, v169, v122
	v_mul_f16_e32 v103, 0x39e9, v94
	v_sub_f16_e32 v99, v126, v99
	v_sub_f16_e32 v101, v103, v101
	v_add_f16_e32 v103, v122, v104
	v_mul_f16_e32 v104, 0xbbdd, v151
	v_add_f16_e32 v99, v99, v100
	v_mul_f16_e32 v100, 0xbbdd, v93
	v_add_f16_e32 v104, v175, v104
	v_sub_f16_e32 v96, v100, v96
	v_add_f16_e32 v100, v101, v102
	v_mul_f16_e32 v101, 0x3b76, v95
	v_add_f16_e32 v102, v104, v103
	v_mul_f16_e32 v103, 0xbacd, v164
	;; [unrolled: 2-line block ×3, first 2 shown]
	v_sub_f16_e32 v101, v101, v109
	v_mul_f16_e32 v104, 0x3b76, v135
	v_add_f16_e32 v103, v182, v103
	v_sub_f16_e32 v97, v99, v97
	v_add_f16_e32 v99, v101, v100
	v_mul_f16_e32 v100, 0x2de8, v98
	v_add_f16_e32 v101, v103, v102
	v_mul_f16_e32 v102, 0xb461, v170
	;; [unrolled: 2-line block ×3, first 2 shown]
	v_sub_f16_e32 v100, v100, v112
	v_add_f16_e32 v104, v139, v104
	v_add_f16_e32 v102, v185, v102
	;; [unrolled: 1-line block ×3, first 2 shown]
	v_sub_f16_e32 v97, v97, v107
	v_add_f16_e32 v99, v100, v99
	v_mul_f16_e32 v107, 0x39e9, v136
	v_add_f16_e32 v100, v102, v101
	v_mul_f16_e32 v101, 0x3722, v176
	;; [unrolled: 2-line block ×3, first 2 shown]
	v_mul_f16_e32 v102, 0xbacd, v105
	v_add_f16_e32 v107, v140, v107
	v_add_f16_e32 v101, v207, v101
	v_sub_f16_e32 v97, v97, v111
	v_sub_f16_e32 v102, v102, v115
	v_add_f16_e32 v100, v101, v100
	v_mul_f16_e32 v101, 0x3b76, v220
	v_add_f16_e32 v96, v97, v96
	v_mul_f16_e32 v97, 0x3b76, v105
	;; [unrolled: 2-line block ×3, first 2 shown]
	v_add_f16_e32 v101, v227, v101
	v_sub_f16_e32 v97, v97, v114
	v_sub_f16_e32 v102, v102, v119
	v_add_f16_e32 v100, v101, v100
	v_mul_f16_e32 v101, 0x3722, v145
	v_add_f16_e32 v96, v97, v96
	v_add_f16_e32 v97, v62, v104
	;; [unrolled: 1-line block ×3, first 2 shown]
	v_mul_f16_e32 v102, 0x3722, v91
	v_add_f16_e32 v101, v161, v101
	v_add_f16_e32 v62, v62, v68
	;; [unrolled: 1-line block ×3, first 2 shown]
	v_sub_f16_e32 v102, v102, v148
	v_add_f16_e32 v62, v67, v62
	v_add_f16_e32 v97, v101, v97
	v_mul_f16_e32 v101, 0x2de8, v151
	v_add_f16_e32 v74, v102, v74
	v_mul_f16_e32 v67, 0xbbdd, v105
	v_add_f16_e32 v62, v66, v62
	v_add_f16_e32 v101, v166, v101
	;; [unrolled: 1-line block ×3, first 2 shown]
	v_sub_f16_e32 v67, v67, v222
	v_add_f16_e32 v62, v65, v62
	v_add_f16_e32 v97, v101, v97
	;; [unrolled: 1-line block ×3, first 2 shown]
	v_mul_f16_e32 v71, 0xb8d2, v95
	v_add_f16_e32 v37, v63, v62
	v_fma_f16 v62, v170, 0x3722, -v221
	v_add_f16_e32 v72, v73, v97
	v_mul_f16_e32 v73, 0xb8d2, v170
	v_sub_f16_e32 v71, v71, v172
	v_add_nc_u32_e32 v63, 0x400, v46
	v_add_f16_e32 v36, v62, v37
	v_fma_f16 v37, v176, 0xb461, -v205
	v_add_f16_e32 v73, v179, v73
	v_add_f16_e32 v70, v71, v70
	v_pack_b32_f16 v62, v153, v158
	v_add_f16_e32 v36, v37, v36
	v_add_f16_e32 v72, v73, v72
	v_mul_f16_e32 v73, 0xbacd, v176
	v_fma_f16 v37, v220, 0x2de8, -v211
	v_add_f16_e32 v73, v200, v73
	v_add_f16_e32 v36, v37, v36
	v_pack_b32_f16 v37, v96, v100
	v_add_f16_e32 v72, v73, v72
	v_add_f16_e32 v73, v75, v84
	v_pack_b32_f16 v33, v33, v36
	v_perm_b32 v36, v43, v28, 0x5040100
	v_add_f16_e32 v68, v69, v72
	v_add_f16_e32 v71, v73, v83
	v_mul_f16_e32 v73, 0xbacd, v98
	v_add_f16_e32 v71, v71, v82
	v_sub_f16_e32 v73, v73, v178
	v_add_f16_e32 v69, v73, v70
	v_add_f16_e32 v70, v71, v81
	;; [unrolled: 1-line block ×7, first 2 shown]
	v_pack_b32_f16 v41, v141, v149
	v_add_f16_e32 v39, v40, v39
	v_pack_b32_f16 v40, v125, v142
	v_add_f16_e32 v34, v39, v34
	v_pack_b32_f16 v39, v120, v123
	v_pack_b32_f16 v34, v34, v35
	;; [unrolled: 1-line block ×4, first 2 shown]
	ds_write2_b32 v46, v34, v35 offset1:50
	ds_write2_b32 v46, v37, v38 offset0:100 offset1:150
	ds_write2_b32 v46, v39, v40 offset0:200 offset1:250
	;; [unrolled: 1-line block ×3, first 2 shown]
	v_pack_b32_f16 v34, v108, v193
	v_perm_b32 v35, v42, v27, 0x5040100
	v_add_nc_u32_e32 v37, 0x600, v46
	v_perm_b32 v38, v44, v29, 0x5040100
	v_perm_b32 v39, v86, v30, 0x5040100
	v_add_nc_u32_e32 v40, 0x800, v46
	v_perm_b32 v41, v89, v31, 0x5040100
	v_perm_b32 v62, v90, v32, 0x5040100
	ds_write2_b32 v63, v34, v33 offset0:144 offset1:194
	ds_write2_b32 v37, v35, v36 offset0:116 offset1:166
	;; [unrolled: 1-line block ×4, first 2 shown]
	ds_write_b32 v46, v64 offset:3200
.LBB0_5:
	s_or_b32 exec_lo, exec_lo, s0
	v_add_co_u32 v33, s0, 0xd48, v57
	v_add_co_ci_u32_e64 v34, s0, 0, v58, s0
	s_waitcnt lgkmcnt(0)
	s_barrier
	buffer_gl0_inv
	s_clause 0x2
	global_load_dword v35, v[25:26], off offset:1352
	global_load_dword v36, v[33:34], off offset:340
	;; [unrolled: 1-line block ×3, first 2 shown]
	v_add_co_u32 v25, s0, 0x1000, v57
	v_add_co_ci_u32_e64 v26, s0, 0, v58, s0
	s_clause 0x3
	global_load_dword v63, v[33:34], off offset:1020
	global_load_dword v64, v[33:34], off offset:1360
	;; [unrolled: 1-line block ×4, first 2 shown]
	v_add_co_u32 v33, s0, 0x1800, v57
	v_add_co_ci_u32_e64 v34, s0, 0, v58, s0
	s_clause 0x2
	global_load_dword v57, v[25:26], off offset:1684
	global_load_dword v58, v[25:26], off offset:2024
	;; [unrolled: 1-line block ×3, first 2 shown]
	ds_read2_b32 v[25:26], v46 offset1:85
	s_waitcnt lgkmcnt(0)
	v_lshrrev_b32_e32 v33, 16, v25
	v_lshrrev_b32_e32 v34, 16, v26
	s_waitcnt vmcnt(9)
	v_mul_f16_sdwa v37, v33, v35 dst_sel:DWORD dst_unused:UNUSED_PAD src0_sel:DWORD src1_sel:WORD_1
	v_mul_f16_sdwa v38, v25, v35 dst_sel:DWORD dst_unused:UNUSED_PAD src0_sel:DWORD src1_sel:WORD_1
	s_waitcnt vmcnt(8)
	v_mul_f16_sdwa v39, v34, v36 dst_sel:DWORD dst_unused:UNUSED_PAD src0_sel:DWORD src1_sel:WORD_1
	v_mul_f16_sdwa v40, v26, v36 dst_sel:DWORD dst_unused:UNUSED_PAD src0_sel:DWORD src1_sel:WORD_1
	v_fma_f16 v25, v25, v35, -v37
	v_fmac_f16_e32 v38, v33, v35
	v_fma_f16 v26, v26, v36, -v39
	v_fmac_f16_e32 v40, v34, v36
	v_add_nc_u32_e32 v37, 0x400, v46
	v_add_nc_u32_e32 v36, 0x600, v46
	v_pack_b32_f16 v25, v25, v38
	v_add_nc_u32_e32 v35, 0x800, v46
	v_pack_b32_f16 v26, v26, v40
	ds_write2_b32 v46, v25, v26 offset1:85
	ds_read2_b32 v[25:26], v46 offset0:170 offset1:255
	ds_read2_b32 v[33:34], v37 offset0:84 offset1:169
	;; [unrolled: 1-line block ×4, first 2 shown]
	s_waitcnt lgkmcnt(3)
	v_lshrrev_b32_e32 v68, 16, v25
	s_waitcnt vmcnt(7)
	v_mul_f16_sdwa v69, v25, v62 dst_sel:DWORD dst_unused:UNUSED_PAD src0_sel:DWORD src1_sel:WORD_1
	v_lshrrev_b32_e32 v70, 16, v26
	s_waitcnt vmcnt(6)
	v_mul_f16_sdwa v71, v26, v63 dst_sel:DWORD dst_unused:UNUSED_PAD src0_sel:DWORD src1_sel:WORD_1
	s_waitcnt lgkmcnt(2)
	v_lshrrev_b32_e32 v72, 16, v33
	s_waitcnt vmcnt(5)
	v_mul_f16_sdwa v73, v33, v64 dst_sel:DWORD dst_unused:UNUSED_PAD src0_sel:DWORD src1_sel:WORD_1
	v_lshrrev_b32_e32 v74, 16, v34
	s_waitcnt vmcnt(4)
	v_mul_f16_sdwa v75, v34, v65 dst_sel:DWORD dst_unused:UNUSED_PAD src0_sel:DWORD src1_sel:WORD_1
	;; [unrolled: 7-line block ×3, first 2 shown]
	s_waitcnt lgkmcnt(0)
	v_lshrrev_b32_e32 v80, 16, v40
	s_waitcnt vmcnt(1)
	v_mul_f16_sdwa v81, v40, v58 dst_sel:DWORD dst_unused:UNUSED_PAD src0_sel:DWORD src1_sel:WORD_1
	v_lshrrev_b32_e32 v82, 16, v41
	v_mul_f16_sdwa v84, v68, v62 dst_sel:DWORD dst_unused:UNUSED_PAD src0_sel:DWORD src1_sel:WORD_1
	v_fmac_f16_e32 v69, v68, v62
	v_mul_f16_sdwa v68, v70, v63 dst_sel:DWORD dst_unused:UNUSED_PAD src0_sel:DWORD src1_sel:WORD_1
	v_fmac_f16_e32 v71, v70, v63
	;; [unrolled: 2-line block ×5, first 2 shown]
	v_mul_f16_sdwa v76, v78, v57 dst_sel:DWORD dst_unused:UNUSED_PAD src0_sel:DWORD src1_sel:WORD_1
	s_waitcnt vmcnt(0)
	v_mul_f16_sdwa v83, v41, v67 dst_sel:DWORD dst_unused:UNUSED_PAD src0_sel:DWORD src1_sel:WORD_1
	v_fmac_f16_e32 v79, v78, v57
	v_mul_f16_sdwa v78, v80, v58 dst_sel:DWORD dst_unused:UNUSED_PAD src0_sel:DWORD src1_sel:WORD_1
	v_fmac_f16_e32 v81, v80, v58
	v_mul_f16_sdwa v80, v82, v67 dst_sel:DWORD dst_unused:UNUSED_PAD src0_sel:DWORD src1_sel:WORD_1
	v_fma_f16 v25, v25, v62, -v84
	v_fma_f16 v26, v26, v63, -v68
	;; [unrolled: 1-line block ×6, first 2 shown]
	v_fmac_f16_e32 v83, v82, v67
	v_fma_f16 v40, v40, v58, -v78
	v_fma_f16 v41, v41, v67, -v80
	v_pack_b32_f16 v25, v25, v69
	v_pack_b32_f16 v26, v26, v71
	;; [unrolled: 1-line block ×8, first 2 shown]
	ds_write2_b32 v46, v25, v26 offset0:170 offset1:255
	ds_write2_b32 v37, v33, v34 offset0:84 offset1:169
	;; [unrolled: 1-line block ×4, first 2 shown]
	s_waitcnt lgkmcnt(0)
	s_barrier
	buffer_gl0_inv
	ds_read2_b32 v[25:26], v46 offset0:170 offset1:255
	ds_read2_b32 v[33:34], v37 offset0:84 offset1:169
	;; [unrolled: 1-line block ×4, first 2 shown]
	ds_read2_b32 v[57:58], v46 offset1:85
	s_waitcnt lgkmcnt(0)
	s_barrier
	buffer_gl0_inv
	v_sub_f16_e32 v66, v25, v33
	v_sub_f16_e32 v69, v33, v25
	v_sub_f16_e32 v65, v40, v38
	v_sub_f16_e32 v68, v38, v40
	v_sub_f16_sdwa v75, v25, v33 dst_sel:DWORD dst_unused:UNUSED_PAD src0_sel:WORD_1 src1_sel:WORD_1
	v_sub_f16_sdwa v76, v40, v38 dst_sel:DWORD dst_unused:UNUSED_PAD src0_sel:WORD_1 src1_sel:WORD_1
	v_add_f16_e32 v79, v34, v39
	v_pk_add_f16 v91, v58, v26
	v_add_f16_sdwa v93, v34, v39 dst_sel:DWORD dst_unused:UNUSED_PAD src0_sel:WORD_1 src1_sel:WORD_1
	v_lshrrev_b32_e32 v94, 16, v58
	v_add_f16_sdwa v99, v26, v41 dst_sel:DWORD dst_unused:UNUSED_PAD src0_sel:WORD_1 src1_sel:WORD_1
	v_add_f16_e32 v62, v33, v38
	v_add_f16_e32 v67, v25, v40
	v_pk_add_f16 v70, v57, v25
	v_add_f16_sdwa v71, v33, v38 dst_sel:DWORD dst_unused:UNUSED_PAD src0_sel:WORD_1 src1_sel:WORD_1
	v_lshrrev_b32_e32 v72, 16, v57
	v_add_f16_sdwa v77, v25, v40 dst_sel:DWORD dst_unused:UNUSED_PAD src0_sel:WORD_1 src1_sel:WORD_1
	v_sub_f16_sdwa v80, v26, v41 dst_sel:DWORD dst_unused:UNUSED_PAD src0_sel:WORD_1 src1_sel:WORD_1
	v_sub_f16_sdwa v81, v34, v39 dst_sel:DWORD dst_unused:UNUSED_PAD src0_sel:WORD_1 src1_sel:WORD_1
	v_sub_f16_e32 v82, v41, v39
	v_sub_f16_e32 v83, v26, v34
	v_add_f16_e32 v84, v26, v41
	v_sub_f16_e32 v88, v34, v26
	v_sub_f16_e32 v95, v26, v41
	;; [unrolled: 1-line block ×3, first 2 shown]
	v_sub_f16_sdwa v97, v26, v34 dst_sel:DWORD dst_unused:UNUSED_PAD src0_sel:WORD_1 src1_sel:WORD_1
	v_sub_f16_sdwa v26, v34, v26 dst_sel:DWORD dst_unused:UNUSED_PAD src0_sel:WORD_1 src1_sel:WORD_1
	v_add_f16_e32 v65, v66, v65
	v_add_f16_e32 v66, v69, v68
	v_add_f16_e32 v68, v75, v76
	v_fma_f16 v69, -0.5, v79, v58
	v_pk_add_f16 v34, v91, v34
	v_fma_f16 v75, -0.5, v93, v94
	v_fmac_f16_e32 v94, -0.5, v99
	v_sub_f16_sdwa v63, v25, v40 dst_sel:DWORD dst_unused:UNUSED_PAD src0_sel:WORD_1 src1_sel:WORD_1
	v_sub_f16_sdwa v64, v33, v38 dst_sel:DWORD dst_unused:UNUSED_PAD src0_sel:WORD_1 src1_sel:WORD_1
	v_sub_f16_e32 v73, v25, v40
	v_sub_f16_e32 v74, v33, v38
	v_sub_f16_sdwa v25, v33, v25 dst_sel:DWORD dst_unused:UNUSED_PAD src0_sel:WORD_1 src1_sel:WORD_1
	v_sub_f16_e32 v85, v39, v41
	v_sub_f16_sdwa v98, v41, v39 dst_sel:DWORD dst_unused:UNUSED_PAD src0_sel:WORD_1 src1_sel:WORD_1
	v_sub_f16_sdwa v100, v39, v41 dst_sel:DWORD dst_unused:UNUSED_PAD src0_sel:WORD_1 src1_sel:WORD_1
	v_fma_f16 v62, -0.5, v62, v57
	v_fma_f16 v57, -0.5, v67, v57
	v_pk_add_f16 v33, v70, v33
	v_fma_f16 v67, -0.5, v71, v72
	v_fmac_f16_e32 v72, -0.5, v77
	v_add_f16_e32 v70, v83, v82
	v_fma_f16 v58, -0.5, v84, v58
	v_fmamk_f16 v82, v80, 0xbb9c, v69
	v_pk_add_f16 v34, v34, v39
	v_fmamk_f16 v39, v95, 0x3b9c, v75
	v_fmamk_f16 v84, v96, 0xbb9c, v94
	v_fmac_f16_e32 v94, 0x3b9c, v96
	v_sub_f16_sdwa v78, v38, v40 dst_sel:DWORD dst_unused:UNUSED_PAD src0_sel:WORD_1 src1_sel:WORD_1
	v_fmac_f16_e32 v75, 0xbb9c, v95
	v_add_f16_e32 v76, v97, v98
	v_add_f16_e32 v26, v26, v100
	v_fmamk_f16 v77, v63, 0xbb9c, v62
	v_fmac_f16_e32 v62, 0x3b9c, v63
	v_pk_add_f16 v33, v33, v38
	v_fmamk_f16 v79, v74, 0xbb9c, v72
	v_fmac_f16_e32 v72, 0x3b9c, v74
	v_fmamk_f16 v83, v81, 0x3b9c, v58
	v_fmac_f16_e32 v58, 0xbb9c, v81
	v_fmac_f16_e32 v82, 0xb8b4, v81
	;; [unrolled: 1-line block ×5, first 2 shown]
	v_add_f16_e32 v25, v25, v78
	v_fmamk_f16 v78, v64, 0x3b9c, v57
	v_fmac_f16_e32 v57, 0xbb9c, v64
	v_fmac_f16_e32 v69, 0x3b9c, v80
	;; [unrolled: 1-line block ×3, first 2 shown]
	v_add_f16_e32 v71, v88, v85
	v_fmamk_f16 v38, v73, 0x3b9c, v67
	v_fmac_f16_e32 v77, 0xb8b4, v64
	v_fmac_f16_e32 v62, 0x38b4, v64
	v_pk_add_f16 v33, v33, v40
	v_fmac_f16_e32 v79, 0x38b4, v73
	v_fmac_f16_e32 v72, 0xb8b4, v73
	;; [unrolled: 1-line block ×4, first 2 shown]
	v_pk_add_f16 v34, v34, v41
	v_fmac_f16_e32 v82, 0x34f2, v70
	v_fmac_f16_e32 v39, 0x34f2, v76
	;; [unrolled: 1-line block ×16, first 2 shown]
	v_pk_add_f16 v25, v33, v34
	v_pk_add_f16 v34, v33, v34 neg_lo:[0,1] neg_hi:[0,1]
	v_mul_f16_e32 v26, 0xb8b4, v39
	v_mul_f16_e32 v33, 0xbb9c, v84
	;; [unrolled: 1-line block ×6, first 2 shown]
	v_fmac_f16_e32 v67, 0xb8b4, v74
	v_fmac_f16_e32 v78, 0x34f2, v66
	;; [unrolled: 1-line block ×4, first 2 shown]
	v_mul_f16_e32 v41, 0xb8b4, v75
	v_mul_f16_e32 v66, 0xba79, v75
	v_fmac_f16_e32 v38, 0x34f2, v68
	v_fmac_f16_e32 v26, 0x3a79, v82
	;; [unrolled: 1-line block ×10, first 2 shown]
	v_add_f16_e32 v58, v77, v26
	v_add_f16_e32 v68, v78, v33
	v_add_f16_e32 v39, v57, v40
	v_add_f16_e32 v70, v38, v63
	v_add_f16_e32 v71, v79, v64
	v_add_f16_e32 v73, v72, v65
	v_add_f16_e32 v69, v62, v41
	v_add_f16_e32 v74, v67, v66
	v_sub_f16_e32 v75, v77, v26
	v_sub_f16_e32 v33, v78, v33
	;; [unrolled: 1-line block ×8, first 2 shown]
	v_pack_b32_f16 v39, v39, v73
	v_pack_b32_f16 v38, v68, v71
	;; [unrolled: 1-line block ×8, first 2 shown]
	ds_write2_b64 v59, v[25:26], v[38:39] offset1:1
	ds_write2_b64 v59, v[33:34], v[40:41] offset0:2 offset1:3
	ds_write_b64 v59, v[57:58] offset:32
	s_waitcnt lgkmcnt(0)
	s_barrier
	buffer_gl0_inv
	ds_read2_b32 v[25:26], v46 offset1:85
	ds_read2_b32 v[33:34], v46 offset0:170 offset1:255
	ds_read2_b32 v[40:41], v37 offset0:84 offset1:169
	;; [unrolled: 1-line block ×4, first 2 shown]
	s_waitcnt lgkmcnt(0)
	s_barrier
	buffer_gl0_inv
	v_lshrrev_b32_e32 v39, 16, v25
	v_lshrrev_b32_e32 v38, 16, v33
	;; [unrolled: 1-line block ×4, first 2 shown]
	v_mul_f16_sdwa v71, v4, v33 dst_sel:DWORD dst_unused:UNUSED_PAD src0_sel:WORD_1 src1_sel:DWORD
	v_lshrrev_b32_e32 v66, 16, v62
	v_mul_f16_sdwa v73, v6, v57 dst_sel:DWORD dst_unused:UNUSED_PAD src0_sel:WORD_1 src1_sel:DWORD
	v_lshrrev_b32_e32 v67, 16, v34
	v_lshrrev_b32_e32 v68, 16, v41
	;; [unrolled: 1-line block ×4, first 2 shown]
	v_mul_f16_sdwa v72, v5, v40 dst_sel:DWORD dst_unused:UNUSED_PAD src0_sel:WORD_1 src1_sel:DWORD
	v_mul_f16_sdwa v74, v7, v62 dst_sel:DWORD dst_unused:UNUSED_PAD src0_sel:WORD_1 src1_sel:DWORD
	;; [unrolled: 1-line block ×5, first 2 shown]
	v_fma_f16 v38, v4, v38, -v71
	v_mul_f16_sdwa v71, v5, v59 dst_sel:DWORD dst_unused:UNUSED_PAD src0_sel:WORD_1 src1_sel:DWORD
	v_mul_f16_sdwa v80, v6, v65 dst_sel:DWORD dst_unused:UNUSED_PAD src0_sel:WORD_1 src1_sel:DWORD
	v_fma_f16 v65, v6, v65, -v73
	v_mul_f16_sdwa v73, v7, v66 dst_sel:DWORD dst_unused:UNUSED_PAD src0_sel:WORD_1 src1_sel:DWORD
	v_mul_f16_sdwa v77, v2, v58 dst_sel:DWORD dst_unused:UNUSED_PAD src0_sel:WORD_1 src1_sel:DWORD
	;; [unrolled: 1-line block ×3, first 2 shown]
	v_fma_f16 v59, v5, v59, -v72
	v_fma_f16 v66, v7, v66, -v74
	v_mul_f16_sdwa v72, v0, v67 dst_sel:DWORD dst_unused:UNUSED_PAD src0_sel:WORD_1 src1_sel:DWORD
	v_fma_f16 v67, v0, v67, -v75
	v_mul_f16_sdwa v74, v1, v68 dst_sel:DWORD dst_unused:UNUSED_PAD src0_sel:WORD_1 src1_sel:DWORD
	;; [unrolled: 2-line block ×3, first 2 shown]
	v_mul_f16_sdwa v76, v3, v70 dst_sel:DWORD dst_unused:UNUSED_PAD src0_sel:WORD_1 src1_sel:DWORD
	v_fmac_f16_e32 v71, v5, v40
	v_fmac_f16_e32 v80, v6, v57
	v_lshrrev_b32_e32 v64, 16, v26
	v_fmac_f16_e32 v79, v4, v33
	v_fmac_f16_e32 v73, v7, v62
	v_fma_f16 v69, v2, v69, -v77
	v_fma_f16 v77, v3, v70, -v78
	v_fmac_f16_e32 v74, v1, v41
	v_fmac_f16_e32 v75, v2, v58
	;; [unrolled: 1-line block ×3, first 2 shown]
	v_sub_f16_e32 v3, v38, v59
	v_sub_f16_e32 v4, v66, v65
	v_fmac_f16_e32 v72, v0, v34
	v_sub_f16_e32 v6, v59, v38
	v_sub_f16_e32 v33, v65, v66
	v_add_f16_e32 v0, v39, v38
	v_add_f16_e32 v1, v59, v65
	;; [unrolled: 1-line block ×6, first 2 shown]
	v_sub_f16_e32 v2, v38, v66
	v_add_f16_e32 v38, v68, v69
	v_add_f16_e32 v93, v3, v4
	;; [unrolled: 1-line block ×6, first 2 shown]
	v_sub_f16_e32 v7, v59, v65
	v_sub_f16_e32 v41, v67, v68
	v_sub_f16_e32 v62, v77, v69
	v_add_f16_e32 v81, v25, v79
	v_add_f16_e32 v0, v0, v59
	v_fma_f16 v40, -0.5, v1, v39
	v_sub_f16_e32 v59, v79, v73
	v_add_f16_e32 v1, v26, v72
	v_fma_f16 v6, -0.5, v82, v25
	v_sub_f16_e32 v57, v67, v77
	v_sub_f16_e32 v58, v68, v69
	;; [unrolled: 1-line block ×6, first 2 shown]
	v_fmac_f16_e32 v39, -0.5, v5
	v_add_f16_e32 v68, v34, v68
	v_fma_f16 v34, -0.5, v85, v25
	v_sub_f16_e32 v4, v72, v74
	v_sub_f16_e32 v5, v76, v75
	v_fma_f16 v70, -0.5, v38, v64
	v_sub_f16_e32 v97, v72, v76
	v_fma_f16 v3, -0.5, v3, v26
	v_sub_f16_e32 v98, v74, v75
	v_fmac_f16_e32 v64, -0.5, v63
	v_fmac_f16_e32 v26, -0.5, v33
	v_sub_f16_e32 v78, v69, v77
	v_sub_f16_e32 v84, v73, v80
	v_add_f16_e32 v99, v41, v62
	v_add_f16_e32 v62, v81, v71
	;; [unrolled: 1-line block ×3, first 2 shown]
	v_fmamk_f16 v41, v59, 0x3b9c, v40
	v_add_f16_e32 v65, v1, v74
	v_fmamk_f16 v1, v2, 0xbb9c, v6
	v_sub_f16_e32 v91, v80, v73
	v_fmamk_f16 v38, v79, 0xbb9c, v39
	v_fmac_f16_e32 v39, 0x3b9c, v79
	v_fmamk_f16 v33, v7, 0x3b9c, v34
	v_fmac_f16_e32 v34, 0xbb9c, v7
	v_fmac_f16_e32 v40, 0xbb9c, v59
	;; [unrolled: 1-line block ×3, first 2 shown]
	v_sub_f16_e32 v95, v74, v72
	v_add_f16_e32 v74, v4, v5
	v_add_f16_e32 v69, v68, v69
	v_fmamk_f16 v68, v97, 0x3b9c, v70
	v_fmamk_f16 v4, v57, 0xbb9c, v3
	v_sub_f16_e32 v96, v75, v76
	v_fmamk_f16 v72, v98, 0xbb9c, v64
	v_fmac_f16_e32 v64, 0x3b9c, v98
	v_fmamk_f16 v5, v58, 0x3b9c, v26
	v_fmac_f16_e32 v26, 0xbb9c, v58
	v_add_f16_e32 v63, v67, v78
	v_add_f16_e32 v67, v83, v84
	v_fmac_f16_e32 v70, 0xbb9c, v97
	v_add_f16_e32 v80, v62, v80
	v_fmac_f16_e32 v41, 0x38b4, v79
	v_fmac_f16_e32 v3, 0x3b9c, v57
	;; [unrolled: 1-line block ×3, first 2 shown]
	v_add_f16_e32 v71, v88, v91
	v_fmac_f16_e32 v38, 0x38b4, v59
	v_fmac_f16_e32 v39, 0xb8b4, v59
	;; [unrolled: 1-line block ×6, first 2 shown]
	v_add_f16_e32 v59, v65, v75
	v_fmac_f16_e32 v68, 0x38b4, v98
	v_fmac_f16_e32 v4, 0xb8b4, v58
	v_add_f16_e32 v78, v95, v96
	v_fmac_f16_e32 v72, 0x38b4, v97
	v_fmac_f16_e32 v64, 0xb8b4, v97
	;; [unrolled: 1-line block ×4, first 2 shown]
	v_add_f16_e32 v25, v0, v66
	v_fmac_f16_e32 v70, 0xb8b4, v98
	v_add_f16_e32 v0, v80, v73
	v_fmac_f16_e32 v41, 0x34f2, v93
	v_fmac_f16_e32 v3, 0x38b4, v58
	;; [unrolled: 1-line block ×9, first 2 shown]
	v_add_f16_e32 v62, v69, v77
	v_add_f16_e32 v7, v59, v76
	v_fmac_f16_e32 v68, 0x34f2, v99
	v_fmac_f16_e32 v4, 0x34f2, v74
	v_fmac_f16_e32 v72, 0x34f2, v63
	v_fmac_f16_e32 v64, 0x34f2, v63
	v_fmac_f16_e32 v5, 0x34f2, v78
	v_fmac_f16_e32 v26, 0x34f2, v78
	v_fmac_f16_e32 v70, 0x34f2, v99
	v_fmac_f16_e32 v3, 0x34f2, v74
	v_pack_b32_f16 v2, v0, v25
	v_pack_b32_f16 v58, v1, v41
	;; [unrolled: 1-line block ×10, first 2 shown]
	ds_write2_b32 v61, v2, v58 offset1:10
	ds_write2_b32 v61, v59, v63 offset0:20 offset1:30
	ds_write_b32 v61, v65 offset:160
	ds_write2_b32 v60, v57, v66 offset1:10
	ds_write2_b32 v60, v67, v69 offset0:20 offset1:30
	ds_write_b32 v60, v71 offset:160
	s_waitcnt lgkmcnt(0)
	s_barrier
	buffer_gl0_inv
	s_and_saveexec_b32 s0, vcc_lo
	s_cbranch_execz .LBB0_7
; %bb.6:
	ds_read2_b32 v[0:1], v46 offset1:50
	ds_read2_b32 v[33:34], v46 offset0:100 offset1:150
	ds_read2_b32 v[6:7], v46 offset0:200 offset1:250
	;; [unrolled: 1-line block ×7, first 2 shown]
	ds_read_b32 v87, v46 offset:3200
	s_waitcnt lgkmcnt(8)
	v_lshrrev_b32_e32 v25, 16, v0
	v_lshrrev_b32_e32 v41, 16, v1
	s_waitcnt lgkmcnt(7)
	v_lshrrev_b32_e32 v38, 16, v33
	v_lshrrev_b32_e32 v39, 16, v34
	;; [unrolled: 3-line block ×8, first 2 shown]
	s_waitcnt lgkmcnt(0)
	v_lshrrev_b32_e32 v92, 16, v87
	v_mov_b32_e32 v26, v2
.LBB0_7:
	s_or_b32 exec_lo, exec_lo, s0
	s_and_saveexec_b32 s0, vcc_lo
	s_cbranch_execz .LBB0_9
; %bb.8:
	v_mul_f16_sdwa v2, v23, v87 dst_sel:DWORD dst_unused:UNUSED_PAD src0_sel:WORD_1 src1_sel:DWORD
	v_mul_f16_sdwa v37, v16, v1 dst_sel:DWORD dst_unused:UNUSED_PAD src0_sel:WORD_1 src1_sel:DWORD
	;; [unrolled: 1-line block ×5, first 2 shown]
	v_fma_f16 v35, v23, v92, -v2
	v_fma_f16 v41, v16, v41, -v37
	v_mul_f16_sdwa v2, v22, v32 dst_sel:DWORD dst_unused:UNUSED_PAD src0_sel:WORD_1 src1_sel:DWORD
	v_mul_f16_sdwa v37, v17, v33 dst_sel:DWORD dst_unused:UNUSED_PAD src0_sel:WORD_1 src1_sel:DWORD
	v_fmac_f16_e32 v59, v16, v1
	v_fmac_f16_e32 v36, v23, v87
	v_add_f16_e32 v91, v35, v41
	v_fma_f16 v23, v22, v90, -v2
	v_fma_f16 v58, v17, v38, -v37
	v_mul_f16_sdwa v37, v22, v90 dst_sel:DWORD dst_unused:UNUSED_PAD src0_sel:WORD_1 src1_sel:DWORD
	v_mul_f16_sdwa v2, v21, v31 dst_sel:DWORD dst_unused:UNUSED_PAD src0_sel:WORD_1 src1_sel:DWORD
	;; [unrolled: 1-line block ×3, first 2 shown]
	v_sub_f16_e32 v1, v59, v36
	v_mul_f16_e32 v38, 0xbbdd, v91
	v_add_f16_e32 v99, v23, v58
	v_fmac_f16_e32 v61, v17, v33
	v_fmac_f16_e32 v37, v22, v32
	v_fma_f16 v32, v21, v89, -v2
	v_fma_f16 v60, v18, v39, -v16
	v_mul_f16_sdwa v65, v18, v39 dst_sel:DWORD dst_unused:UNUSED_PAD src0_sel:WORD_1 src1_sel:DWORD
	v_mul_f16_sdwa v33, v21, v89 dst_sel:DWORD dst_unused:UNUSED_PAD src0_sel:WORD_1 src1_sel:DWORD
	v_fmamk_f16 v57, v1, 0x31e1, v38
	v_mul_f16_e32 v39, 0x3b76, v99
	v_sub_f16_e32 v16, v61, v37
	v_add_f16_e32 v104, v32, v60
	v_fmac_f16_e32 v65, v18, v34
	v_fmac_f16_e32 v33, v21, v31
	v_add_f16_e32 v17, v25, v57
	v_fmamk_f16 v18, v16, 0xb5c8, v39
	v_mul_f16_e32 v31, 0xbacd, v104
	v_mul_f16_sdwa v21, v20, v30 dst_sel:DWORD dst_unused:UNUSED_PAD src0_sel:WORD_1 src1_sel:DWORD
	v_sub_f16_e32 v2, v65, v33
	v_mul_f16_sdwa v22, v19, v6 dst_sel:DWORD dst_unused:UNUSED_PAD src0_sel:WORD_1 src1_sel:DWORD
	v_add_f16_e32 v17, v18, v17
	v_mul_f16_sdwa v66, v19, v40 dst_sel:DWORD dst_unused:UNUSED_PAD src0_sel:WORD_1 src1_sel:DWORD
	v_fma_f16 v34, v20, v86, -v21
	v_fmamk_f16 v18, v2, 0x3836, v31
	v_fma_f16 v63, v19, v40, -v22
	v_mul_f16_sdwa v57, v20, v86 dst_sel:DWORD dst_unused:UNUSED_PAD src0_sel:WORD_1 src1_sel:DWORD
	v_mul_f16_sdwa v21, v15, v29 dst_sel:DWORD dst_unused:UNUSED_PAD src0_sel:WORD_1 src1_sel:DWORD
	;; [unrolled: 1-line block ×4, first 2 shown]
	v_add_f16_e32 v131, v34, v63
	v_fmac_f16_e32 v66, v19, v6
	v_fmac_f16_e32 v57, v20, v30
	v_fma_f16 v30, v15, v44, -v21
	v_fma_f16 v67, v8, v62, -v22
	v_mul_f16_sdwa v44, v15, v44 dst_sel:DWORD dst_unused:UNUSED_PAD src0_sel:WORD_1 src1_sel:DWORD
	v_fmac_f16_e32 v71, v8, v7
	v_add_f16_e32 v8, v18, v17
	v_mul_f16_sdwa v17, v14, v28 dst_sel:DWORD dst_unused:UNUSED_PAD src0_sel:WORD_1 src1_sel:DWORD
	v_mul_f16_sdwa v18, v9, v4 dst_sel:DWORD dst_unused:UNUSED_PAD src0_sel:WORD_1 src1_sel:DWORD
	v_mul_f16_e32 v40, 0x39e9, v131
	v_sub_f16_e32 v6, v66, v57
	v_add_f16_e32 v142, v30, v67
	v_fmac_f16_e32 v44, v15, v29
	v_fma_f16 v62, v14, v43, -v17
	v_fma_f16 v73, v9, v68, -v18
	v_mul_f16_sdwa v85, v9, v68 dst_sel:DWORD dst_unused:UNUSED_PAD src0_sel:WORD_1 src1_sel:DWORD
	v_mul_f16_sdwa v69, v14, v43 dst_sel:DWORD dst_unused:UNUSED_PAD src0_sel:WORD_1 src1_sel:DWORD
	;; [unrolled: 1-line block ×4, first 2 shown]
	v_fmamk_f16 v15, v6, 0xb964, v40
	v_mul_f16_e32 v29, 0xb8d2, v142
	v_sub_f16_e32 v7, v71, v44
	v_add_f16_e32 v165, v62, v73
	v_fmac_f16_e32 v85, v9, v4
	v_fmac_f16_e32 v69, v14, v28
	v_fma_f16 v68, v13, v42, -v17
	v_fma_f16 v86, v10, v72, -v18
	v_mul_f16_sdwa v95, v10, v72 dst_sel:DWORD dst_unused:UNUSED_PAD src0_sel:WORD_1 src1_sel:DWORD
	v_mul_f16_sdwa v88, v13, v42 dst_sel:DWORD dst_unused:UNUSED_PAD src0_sel:WORD_1 src1_sel:DWORD
	v_add_f16_e32 v8, v15, v8
	v_fmamk_f16 v15, v7, 0x3a62, v29
	v_mul_f16_e32 v28, 0x3722, v165
	v_sub_f16_e32 v4, v85, v69
	v_add_f16_e32 v112, v68, v86
	v_fmac_f16_e32 v95, v10, v5
	v_fmac_f16_e32 v88, v13, v27
	v_add_f16_e32 v8, v15, v8
	v_fmamk_f16 v9, v4, 0xbb29, v28
	v_mul_f16_e32 v42, 0xb461, v112
	v_sub_f16_e32 v162, v41, v35
	v_sub_f16_e32 v5, v95, v88
	;; [unrolled: 1-line block ×3, first 2 shown]
	v_add_f16_e32 v9, v9, v8
	v_add_f16_e32 v8, v36, v59
	v_mul_f16_e32 v76, 0xb1e1, v162
	v_fmamk_f16 v10, v5, 0x3bb2, v42
	v_mul_f16_e32 v77, 0x35c8, v150
	v_sub_f16_e32 v157, v60, v32
	v_mul_f16_sdwa v13, v12, v3 dst_sel:DWORD dst_unused:UNUSED_PAD src0_sel:WORD_1 src1_sel:DWORD
	v_mul_f16_sdwa v14, v11, v26 dst_sel:DWORD dst_unused:UNUSED_PAD src0_sel:WORD_1 src1_sel:DWORD
	v_add_f16_e32 v17, v10, v9
	v_fmamk_f16 v10, v8, 0xbbdd, v76
	v_add_f16_e32 v9, v37, v61
	v_mul_f16_e32 v80, 0xb836, v157
	v_sub_f16_e32 v159, v63, v34
	v_fma_f16 v126, v12, v70, -v13
	v_add_f16_e32 v15, v0, v10
	v_fmamk_f16 v18, v9, 0x3b76, v77
	v_add_f16_e32 v10, v33, v65
	v_fma_f16 v141, v11, v64, -v14
	v_add_f16_e32 v13, v57, v66
	v_mul_f16_e32 v83, 0x3964, v159
	v_add_f16_e32 v14, v18, v15
	v_fmamk_f16 v15, v10, 0xbacd, v80
	v_mul_f16_sdwa v155, v11, v64 dst_sel:DWORD dst_unused:UNUSED_PAD src0_sel:WORD_1 src1_sel:DWORD
	v_sub_f16_e32 v160, v67, v30
	v_fmamk_f16 v18, v13, 0x39e9, v83
	v_mul_f16_e32 v93, 0xbacd, v91
	v_add_f16_e32 v15, v15, v14
	v_mul_f16_sdwa v156, v12, v70 dst_sel:DWORD dst_unused:UNUSED_PAD src0_sel:WORD_1 src1_sel:DWORD
	v_add_f16_e32 v14, v44, v71
	v_mul_f16_e32 v78, 0xba62, v160
	v_fmac_f16_e32 v155, v11, v26
	v_add_f16_e32 v11, v18, v15
	v_fmamk_f16 v15, v1, 0x3836, v93
	v_mul_f16_e32 v94, 0x3722, v99
	v_add_f16_e32 v166, v126, v141
	v_fmac_f16_e32 v156, v12, v3
	v_fmamk_f16 v12, v14, 0xb8d2, v78
	v_sub_f16_e32 v182, v73, v62
	v_add_f16_e32 v18, v25, v15
	v_fmamk_f16 v19, v16, 0xbb29, v94
	v_mul_f16_e32 v82, 0x2de8, v104
	v_mul_f16_e32 v72, 0x2de8, v166
	v_sub_f16_e32 v3, v155, v156
	v_add_f16_e32 v11, v12, v11
	v_add_f16_e32 v12, v69, v85
	v_mul_f16_e32 v96, 0x3b29, v182
	v_sub_f16_e32 v181, v86, v68
	v_add_f16_e32 v18, v19, v18
	v_fmamk_f16 v19, v2, 0x3bf7, v82
	v_mul_f16_e32 v84, 0xb8d2, v131
	v_fmamk_f16 v20, v12, 0x3722, v96
	v_add_f16_e32 v15, v88, v95
	v_mul_f16_e32 v87, 0xbbb2, v181
	v_fmamk_f16 v21, v3, 0xbbf7, v72
	v_add_f16_e32 v18, v19, v18
	v_fmamk_f16 v19, v6, 0xba62, v84
	v_mul_f16_e32 v74, 0x3b76, v142
	v_sub_f16_e32 v190, v141, v126
	v_add_f16_e32 v20, v20, v11
	v_fmamk_f16 v22, v15, 0xb461, v87
	v_add_f16_e32 v11, v21, v17
	v_add_f16_e32 v18, v19, v18
	v_fmamk_f16 v19, v7, 0x35c8, v74
	v_mul_f16_e32 v75, 0xbbdd, v165
	v_add_f16_e32 v17, v156, v155
	v_mul_f16_e32 v89, 0x3bf7, v190
	v_mul_f16_e32 v106, 0xb836, v162
	v_add_f16_e32 v20, v22, v20
	v_add_f16_e32 v18, v19, v18
	v_fmamk_f16 v19, v4, 0x31e1, v75
	v_mul_f16_e32 v79, 0x39e9, v112
	v_fmamk_f16 v21, v17, 0x2de8, v89
	v_fmamk_f16 v22, v8, 0xbacd, v106
	v_mul_f16_e32 v107, 0x3b29, v150
	v_add_f16_e32 v19, v19, v18
	v_fmamk_f16 v26, v5, 0xb964, v79
	v_add_f16_e32 v18, v21, v20
	v_add_f16_e32 v20, v0, v22
	v_fmamk_f16 v21, v9, 0x3722, v107
	v_mul_f16_e32 v108, 0xbbf7, v157
	v_mul_f16_e32 v109, 0xb8d2, v91
	v_add_f16_e32 v19, v26, v19
	v_mul_f16_e32 v117, 0x3a62, v159
	v_add_f16_e32 v20, v21, v20
	v_fmamk_f16 v21, v10, 0x2de8, v108
	v_fmamk_f16 v26, v1, 0x3a62, v109
	v_mul_f16_e32 v110, 0xb461, v99
	v_mul_f16_e32 v118, 0xb5c8, v160
	v_mul_f16_e32 v111, 0x3b76, v104
	v_add_f16_e32 v20, v21, v20
	v_fmamk_f16 v21, v13, 0xb8d2, v117
	v_add_f16_e32 v26, v25, v26
	v_fmamk_f16 v27, v16, 0xbbb2, v110
	v_mul_f16_e32 v70, 0xb461, v166
	v_mul_f16_e32 v119, 0xb1e1, v182
	v_add_f16_e32 v20, v21, v20
	v_fmamk_f16 v21, v14, 0x3b76, v118
	v_add_f16_e32 v26, v27, v26
	v_fmamk_f16 v27, v2, 0x35c8, v111
	v_mul_f16_e32 v100, 0xbacd, v131
	v_fmamk_f16 v22, v3, 0x3bb2, v70
	v_add_f16_e32 v20, v21, v20
	v_fmamk_f16 v21, v12, 0xbbdd, v119
	v_mul_f16_e32 v102, 0x3964, v181
	v_add_f16_e32 v26, v27, v26
	v_fmamk_f16 v27, v6, 0x3836, v100
	v_mul_f16_e32 v101, 0x2de8, v142
	v_add_f16_e32 v20, v21, v20
	v_fmamk_f16 v21, v15, 0x39e9, v102
	v_add_f16_e32 v19, v22, v19
	v_add_f16_e32 v22, v27, v26
	v_fmamk_f16 v26, v7, 0xbbf7, v101
	v_mul_f16_e32 v92, 0x39e9, v165
	v_mul_f16_e32 v103, 0xbbb2, v190
	v_mul_f16_e32 v127, 0xba62, v162
	v_add_f16_e32 v20, v21, v20
	v_add_f16_e32 v21, v26, v22
	v_fmamk_f16 v22, v4, 0x3964, v92
	v_mul_f16_e32 v97, 0xbbdd, v112
	v_fmamk_f16 v26, v17, 0xb461, v103
	v_fmamk_f16 v27, v8, 0xb8d2, v127
	v_mul_f16_e32 v128, 0x3bb2, v150
	v_add_f16_e32 v21, v22, v21
	v_fmamk_f16 v22, v5, 0x31e1, v97
	v_add_f16_e32 v20, v26, v20
	v_add_f16_e32 v26, v0, v27
	v_fmamk_f16 v27, v9, 0xb461, v128
	v_mul_f16_e32 v129, 0xb5c8, v157
	v_mul_f16_e32 v132, 0xb461, v91
	v_add_f16_e32 v21, v22, v21
	v_mul_f16_e32 v138, 0xb836, v159
	v_add_f16_e32 v22, v27, v26
	v_fmamk_f16 v26, v10, 0x3b76, v129
	v_fmamk_f16 v43, v1, 0x3bb2, v132
	v_mul_f16_e32 v133, 0xbacd, v99
	v_mul_f16_e32 v139, 0x3bf7, v160
	v_mul_f16_e32 v115, 0x39e9, v104
	v_add_f16_e32 v22, v26, v22
	v_fmamk_f16 v26, v13, 0xbacd, v138
	v_add_f16_e32 v43, v25, v43
	v_fmamk_f16 v64, v16, 0xb836, v133
	v_mul_f16_e32 v81, 0x3722, v166
	v_mul_f16_e32 v121, 0xb964, v182
	v_add_f16_e32 v22, v26, v22
	v_fmamk_f16 v26, v14, 0x2de8, v139
	v_add_f16_e32 v43, v64, v43
	v_fmamk_f16 v64, v2, 0xb964, v115
	v_mul_f16_e32 v116, 0x3722, v131
	v_fmamk_f16 v27, v3, 0xbb29, v81
	v_add_f16_e32 v22, v26, v22
	v_fmamk_f16 v26, v12, 0x39e9, v121
	v_mul_f16_e32 v122, 0xb1e1, v181
	v_add_f16_e32 v43, v64, v43
	v_fmamk_f16 v64, v6, 0x3b29, v116
	v_mul_f16_e32 v120, 0xbbdd, v142
	v_add_f16_e32 v22, v26, v22
	v_fmamk_f16 v26, v15, 0xbbdd, v122
	v_add_f16_e32 v21, v27, v21
	v_add_f16_e32 v27, v64, v43
	v_fmamk_f16 v43, v7, 0x31e1, v120
	v_mul_f16_e32 v105, 0x2de8, v165
	;; [unrolled: 48-line block ×5, first 2 shown]
	v_add_f16_e32 v114, v134, v114
	v_add_f16_e32 v59, v0, v59
	v_fmac_f16_e32 v38, 0xb1e1, v1
	v_add_f16_e32 v134, v183, v167
	v_fmamk_f16 v167, v4, 0xbbb2, v200
	v_mul_f16_e32 v183, 0x3722, v112
	v_add_f16_e32 v209, v61, v59
	v_add_f16_e32 v38, v25, v38
	v_fmac_f16_e32 v39, 0x35c8, v16
	v_add_f16_e32 v134, v167, v134
	v_fmamk_f16 v193, v5, 0xbb29, v183
	v_add_f16_e32 v65, v65, v209
	v_fmac_f16_e32 v31, 0xb836, v2
	v_add_f16_e32 v38, v39, v38
	v_fmac_f16_e32 v40, 0x3964, v6
	v_add_f16_e32 v203, v193, v134
	v_mul_f16_e32 v134, 0x3b76, v166
	v_add_f16_e32 v65, v66, v65
	v_add_f16_e32 v31, v31, v38
	v_fmac_f16_e32 v29, 0xba62, v7
	v_fmac_f16_e32 v28, 0x3b29, v4
	v_fmamk_f16 v204, v3, 0xb5c8, v134
	v_add_f16_e32 v65, v71, v65
	v_add_f16_e32 v31, v40, v31
	v_fmac_f16_e32 v93, 0xb836, v1
	v_fmac_f16_e32 v94, 0x3b29, v16
	v_add_f16_e32 v59, v204, v203
	v_add_f16_e32 v204, v41, v25
	;; [unrolled: 1-line block ×4, first 2 shown]
	v_fmac_f16_e32 v82, 0xbbf7, v2
	v_fmac_f16_e32 v84, 0x3a62, v6
	v_add_f16_e32 v58, v58, v204
	v_add_f16_e32 v65, v95, v65
	;; [unrolled: 1-line block ×3, first 2 shown]
	v_fmac_f16_e32 v109, 0xba62, v1
	v_fmac_f16_e32 v110, 0x3bb2, v16
	v_add_f16_e32 v58, v60, v58
	v_add_f16_e32 v65, v155, v65
	v_fmac_f16_e32 v111, 0xb5c8, v2
	v_fmac_f16_e32 v100, 0xb836, v6
	v_fmac_f16_e32 v101, 0x3bf7, v7
	v_add_f16_e32 v58, v63, v58
	v_add_f16_e32 v65, v156, v65
	v_fmac_f16_e32 v132, 0xbbb2, v1
	;; [unrolled: 5-line block ×4, first 2 shown]
	v_fmac_f16_e32 v42, 0xbbb2, v5
	v_add_f16_e32 v40, v25, v151
	v_add_f16_e32 v67, v86, v67
	;; [unrolled: 1-line block ×3, first 2 shown]
	v_fmac_f16_e32 v136, 0x3bb2, v2
	v_mul_f16_e32 v174, 0xb836, v190
	v_mul_f16_e32 v201, 0xb964, v162
	v_add_f16_e32 v67, v141, v67
	v_add_f16_e32 v44, v57, v44
	;; [unrolled: 1-line block ×3, first 2 shown]
	v_fmac_f16_e32 v137, 0x35c8, v6
	v_fma_f16 v42, v9, 0xbbdd, -v170
	v_add_f16_e32 v67, v126, v67
	v_add_f16_e32 v33, v33, v44
	v_fma_f16 v44, v9, 0x3b76, -v77
	v_fmamk_f16 v191, v17, 0xbacd, v174
	v_fmamk_f16 v192, v8, 0x39e9, v201
	v_add_f16_e32 v65, v68, v67
	v_add_f16_e32 v33, v37, v33
	v_fma_f16 v37, v10, 0xbacd, -v80
	v_mul_f16_e32 v184, 0xbbf7, v150
	v_fmac_f16_e32 v175, 0xbb29, v1
	v_add_f16_e32 v57, v62, v65
	v_fma_f16 v62, v8, 0xbbdd, -v76
	v_add_f16_e32 v33, v36, v33
	v_fma_f16 v36, v9, 0xb461, -v128
	v_add_f16_e32 v114, v191, v114
	v_add_f16_e32 v30, v30, v57
	;; [unrolled: 1-line block ×4, first 2 shown]
	v_fmamk_f16 v192, v9, 0x2de8, v184
	v_mul_f16_e32 v167, 0xba62, v157
	v_add_f16_e32 v30, v34, v30
	v_add_f16_e32 v34, v44, v38
	v_fma_f16 v38, v9, 0xbacd, -v154
	v_add_f16_e32 v44, v25, v175
	v_fmac_f16_e32 v176, 0xba62, v16
	v_add_f16_e32 v30, v32, v30
	v_add_f16_e32 v31, v37, v34
	v_fma_f16 v32, v13, 0x39e9, -v83
	v_fma_f16 v34, v9, 0x3722, -v107
	v_add_f16_e32 v37, v25, v132
	v_add_f16_e32 v23, v23, v30
	v_fma_f16 v30, v14, 0xb8d2, -v78
	v_add_f16_e32 v29, v32, v31
	v_add_f16_e32 v31, v25, v93
	;; [unrolled: 3-line block ×3, first 2 shown]
	v_add_f16_e32 v29, v30, v29
	v_fma_f16 v30, v12, 0x3722, -v96
	v_add_f16_e32 v31, v94, v31
	v_add_f16_e32 v32, v0, v32
	;; [unrolled: 1-line block ×3, first 2 shown]
	v_mul_f16_e32 v202, 0x3b76, v91
	v_add_f16_e32 v29, v30, v29
	v_fma_f16 v30, v15, 0xb461, -v87
	v_add_f16_e32 v31, v82, v31
	v_add_f16_e32 v192, v192, v191
	v_fmamk_f16 v193, v10, 0xb8d2, v167
	v_mul_f16_e32 v91, 0xb1e1, v159
	v_add_f16_e32 v29, v30, v29
	v_add_f16_e32 v30, v84, v31
	;; [unrolled: 1-line block ×3, first 2 shown]
	v_fma_f16 v32, v10, 0x2de8, -v108
	v_fma_f16 v34, v17, 0x2de8, -v89
	v_add_f16_e32 v44, v176, v44
	v_fmac_f16_e32 v177, 0x31e1, v2
	v_fmamk_f16 v194, v1, 0x35c8, v202
	v_add_f16_e32 v31, v32, v31
	v_fma_f16 v32, v13, 0xb8d2, -v117
	v_add_f16_e32 v29, v34, v29
	v_add_f16_e32 v34, v111, v35
	v_fma_f16 v35, v8, 0xb8d2, -v127
	v_mul_f16_e32 v191, 0x39e9, v99
	v_add_f16_e32 v31, v32, v31
	v_fma_f16 v32, v14, 0x3b76, -v118
	v_add_f16_e32 v34, v100, v34
	v_add_f16_e32 v35, v0, v35
	;; [unrolled: 1-line block ×3, first 2 shown]
	v_fmamk_f16 v205, v13, 0xbbdd, v91
	v_add_f16_e32 v31, v32, v31
	v_fma_f16 v32, v12, 0xbbdd, -v119
	v_mul_f16_e32 v99, 0x3836, v160
	v_add_f16_e32 v44, v177, v44
	v_fmac_f16_e32 v161, 0x3bb2, v6
	v_fmac_f16_e32 v195, 0xb964, v1
	v_add_f16_e32 v31, v32, v31
	v_fma_f16 v32, v15, 0x39e9, -v102
	v_add_f16_e32 v194, v25, v194
	v_fmamk_f16 v206, v16, 0x3964, v191
	v_mul_f16_e32 v192, 0x3722, v104
	v_add_f16_e32 v205, v205, v193
	v_add_f16_e32 v31, v32, v31
	;; [unrolled: 1-line block ×4, first 2 shown]
	v_fma_f16 v35, v10, 0x3b76, -v129
	v_fma_f16 v36, v17, 0xb461, -v103
	v_fmamk_f16 v207, v14, 0xbacd, v99
	v_mul_f16_e32 v104, 0x3bb2, v182
	v_add_f16_e32 v62, v25, v195
	v_add_f16_e32 v34, v35, v34
	v_fma_f16 v35, v13, 0xbacd, -v138
	v_add_f16_e32 v31, v36, v31
	v_add_f16_e32 v36, v133, v37
	v_fma_f16 v37, v8, 0xb461, -v153
	v_fmac_f16_e32 v196, 0xbbf7, v16
	v_add_f16_e32 v34, v35, v34
	v_fma_f16 v35, v14, 0x2de8, -v139
	v_add_f16_e32 v36, v115, v36
	v_add_f16_e32 v37, v0, v37
	;; [unrolled: 1-line block ×3, first 2 shown]
	v_fmamk_f16 v206, v2, 0x3b29, v192
	v_add_f16_e32 v34, v35, v34
	v_fma_f16 v35, v12, 0x39e9, -v121
	v_add_f16_e32 v36, v116, v36
	v_add_f16_e32 v37, v38, v37
	v_fma_f16 v38, v10, 0x39e9, -v158
	v_mul_f16_e32 v193, 0x2de8, v131
	v_add_f16_e32 v34, v35, v34
	v_fma_f16 v35, v15, 0xbbdd, -v122
	v_add_f16_e32 v205, v207, v205
	v_fmamk_f16 v207, v12, 0xb461, v104
	v_mul_f16_e32 v131, 0x3b29, v181
	v_fma_f16 v57, v15, 0xb8d2, -v144
	v_add_f16_e32 v34, v35, v34
	v_add_f16_e32 v35, v120, v36
	;; [unrolled: 1-line block ×3, first 2 shown]
	v_fma_f16 v37, v13, 0x3722, -v169
	v_fma_f16 v38, v17, 0x3722, -v123
	v_add_f16_e32 v62, v196, v62
	v_fmac_f16_e32 v197, 0xba62, v2
	v_add_f16_e32 v206, v206, v194
	v_add_f16_e32 v36, v37, v36
	v_fma_f16 v37, v14, 0xbbdd, -v163
	v_add_f16_e32 v34, v38, v34
	v_add_f16_e32 v38, v152, v40
	v_fma_f16 v40, v8, 0x2de8, -v168
	v_mul_f16_e32 v194, 0xb461, v142
	v_add_f16_e32 v36, v37, v36
	v_fma_f16 v37, v12, 0x2de8, -v164
	v_add_f16_e32 v38, v136, v38
	v_add_f16_e32 v40, v0, v40
	;; [unrolled: 1-line block ×3, first 2 shown]
	v_fmamk_f16 v207, v15, 0x3722, v131
	v_add_f16_e32 v36, v37, v36
	v_fma_f16 v37, v15, 0x3b76, -v148
	v_mul_f16_e32 v142, 0x35c8, v190
	v_fmac_f16_e32 v198, 0xb1e1, v6
	v_add_f16_e32 v205, v207, v205
	v_mul_f16_e32 v162, 0xb5c8, v162
	v_add_f16_e32 v36, v37, v36
	v_add_f16_e32 v37, v137, v38
	;; [unrolled: 1-line block ×3, first 2 shown]
	v_fma_f16 v40, v10, 0xb461, -v171
	v_fma_f16 v42, v17, 0xb8d2, -v149
	v_fmamk_f16 v207, v17, 0x3b76, v142
	v_fmac_f16_e32 v199, 0x3836, v7
	v_fmamk_f16 v208, v6, 0x3bf7, v193
	v_add_f16_e32 v38, v40, v38
	v_fma_f16 v40, v13, 0x3b76, -v178
	v_add_f16_e32 v36, v42, v36
	v_fma_f16 v42, v8, 0x3722, -v185
	v_add_f16_e32 v61, v207, v205
	v_fmamk_f16 v205, v8, 0x3b76, v162
	v_add_f16_e32 v38, v40, v38
	v_fma_f16 v40, v14, 0x3722, -v179
	v_add_f16_e32 v42, v0, v42
	v_mul_f16_e32 v150, 0xb964, v150
	v_fmac_f16_e32 v200, 0x3bb2, v4
	v_add_f16_e32 v206, v208, v206
	v_add_f16_e32 v38, v40, v38
	v_fma_f16 v40, v12, 0xbacd, -v180
	v_fmamk_f16 v208, v7, 0x3bb2, v194
	v_mul_f16_e32 v165, 0xb8d2, v165
	v_mul_f16_e32 v41, 0xbacd, v112
	v_add_f16_e32 v66, v0, v205
	v_add_f16_e32 v38, v40, v38
	;; [unrolled: 1-line block ×3, first 2 shown]
	v_fma_f16 v44, v9, 0xb8d2, -v172
	v_fmamk_f16 v112, v9, 0x39e9, v150
	v_mul_f16_e32 v157, 0xbb29, v157
	v_add_f16_e32 v38, v57, v38
	v_add_f16_e32 v57, v197, v62
	;; [unrolled: 1-line block ×3, first 2 shown]
	v_fma_f16 v44, v10, 0xbbdd, -v173
	v_fma_f16 v62, v17, 0x39e9, -v135
	v_fmac_f16_e32 v183, 0x3b29, v5
	v_add_f16_e32 v57, v198, v57
	v_fmac_f16_e32 v202, 0xb5c8, v1
	v_add_f16_e32 v42, v44, v42
	v_fma_f16 v44, v13, 0xb461, -v186
	v_add_f16_e32 v38, v62, v38
	v_add_f16_e32 v57, v199, v57
	v_fma_f16 v62, v8, 0x39e9, -v201
	v_fma_f16 v8, v8, 0x3b76, -v162
	v_add_f16_e32 v42, v44, v42
	v_fma_f16 v44, v14, 0x39e9, -v187
	v_add_f16_e32 v57, v200, v57
	v_add_f16_e32 v206, v208, v206
	v_fmamk_f16 v208, v4, 0x3a62, v165
	v_add_f16_e32 v66, v112, v66
	v_add_f16_e32 v42, v44, v42
	v_fma_f16 v44, v12, 0x3b76, -v188
	v_fmamk_f16 v71, v10, 0x3722, v157
	v_mul_f16_e32 v63, 0xbbf7, v159
	v_add_f16_e32 v25, v25, v202
	v_fmac_f16_e32 v191, 0xb964, v16
	v_add_f16_e32 v42, v44, v42
	v_fma_f16 v44, v15, 0x2de8, -v189
	v_fmac_f16_e32 v192, 0xbb29, v2
	v_fma_f16 v2, v9, 0x39e9, -v150
	v_add_f16_e32 v203, v208, v206
	v_fmamk_f16 v60, v5, 0x3836, v41
	v_add_f16_e32 v42, v44, v42
	v_add_f16_e32 v44, v183, v57
	;; [unrolled: 1-line block ×3, first 2 shown]
	v_fma_f16 v62, v9, 0x2de8, -v184
	v_add_f16_e32 v0, v0, v8
	v_add_f16_e32 v66, v71, v66
	v_fmamk_f16 v71, v13, 0x2de8, v63
	v_mul_f16_e32 v85, 0xbbb2, v160
	v_mul_f16_e32 v58, 0xbbdd, v166
	v_add_f16_e32 v16, v62, v57
	v_fma_f16 v57, v10, 0xb8d2, -v167
	v_add_f16_e32 v25, v191, v25
	v_add_f16_e32 v0, v2, v0
	v_fma_f16 v2, v10, 0x3722, -v157
	v_add_f16_e32 v60, v60, v203
	v_add_f16_e32 v66, v71, v66
	v_fmamk_f16 v71, v14, 0xb461, v85
	v_mul_f16_e32 v73, 0xba62, v182
	v_fmamk_f16 v86, v3, 0x31e1, v58
	v_add_f16_e32 v8, v57, v16
	v_fma_f16 v9, v13, 0xbbdd, -v91
	v_add_f16_e32 v16, v192, v25
	v_fmac_f16_e32 v193, 0xbbf7, v6
	v_add_f16_e32 v0, v2, v0
	v_fma_f16 v2, v13, 0x2de8, -v63
	v_add_f16_e32 v66, v71, v66
	v_fmamk_f16 v71, v12, 0xb8d2, v73
	v_add_f16_e32 v60, v86, v60
	v_mul_f16_e32 v86, 0xb836, v181
	v_add_f16_e32 v6, v9, v8
	v_fma_f16 v8, v14, 0xbacd, -v99
	v_add_f16_e32 v9, v193, v16
	v_fmac_f16_e32 v194, 0xbbb2, v7
	v_fmac_f16_e32 v74, 0xb5c8, v7
	;; [unrolled: 1-line block ×4, first 2 shown]
	v_add_f16_e32 v0, v2, v0
	v_fma_f16 v2, v14, 0xb461, -v85
	v_add_f16_e32 v66, v71, v66
	v_fmamk_f16 v69, v15, 0xbacd, v86
	v_mul_f16_e32 v71, 0xb1e1, v190
	v_add_f16_e32 v6, v8, v6
	v_fma_f16 v7, v12, 0xb461, -v104
	v_add_f16_e32 v8, v194, v9
	v_fmac_f16_e32 v165, 0xba62, v4
	v_add_f16_e32 v30, v74, v30
	v_fmac_f16_e32 v75, 0xb1e1, v4
	v_fmac_f16_e32 v92, 0xb964, v4
	;; [unrolled: 1-line block ×3, first 2 shown]
	v_add_f16_e32 v37, v124, v37
	v_fmac_f16_e32 v125, 0xb836, v4
	v_add_f16_e32 v40, v145, v40
	v_fmac_f16_e32 v143, 0xb5c8, v4
	v_add_f16_e32 v0, v2, v0
	v_fma_f16 v2, v12, 0xb8d2, -v73
	v_add_f16_e32 v66, v69, v66
	v_fmamk_f16 v67, v17, 0xbbdd, v71
	v_add_f16_e32 v4, v7, v6
	v_fma_f16 v6, v15, 0x3722, -v131
	v_add_f16_e32 v7, v165, v8
	v_fmac_f16_e32 v41, 0xb836, v5
	v_add_f16_e32 v30, v75, v30
	v_fmac_f16_e32 v79, 0x3964, v5
	;; [unrolled: 2-line block ×6, first 2 shown]
	v_add_f16_e32 v0, v2, v0
	v_fma_f16 v2, v15, 0xbacd, -v86
	v_add_f16_e32 v39, v67, v66
	v_fmac_f16_e32 v72, 0x3bf7, v3
	v_add_f16_e32 v4, v6, v4
	v_fma_f16 v5, v17, 0x3b76, -v142
	v_add_f16_e32 v6, v41, v7
	v_fmac_f16_e32 v58, 0xb1e1, v3
	v_add_f16_e32 v30, v79, v30
	v_fmac_f16_e32 v70, 0xbbb2, v3
	;; [unrolled: 2-line block ×6, first 2 shown]
	v_fma_f16 v1, v17, 0xbacd, -v174
	v_fmac_f16_e32 v134, 0x35c8, v3
	v_add_f16_e32 v0, v2, v0
	v_fma_f16 v2, v17, 0xbbdd, -v71
	v_add_f16_e32 v28, v72, v28
	v_add_f16_e32 v4, v5, v4
	;; [unrolled: 1-line block ×3, first 2 shown]
	v_pack_b32_f16 v6, v33, v23
	v_pack_b32_f16 v7, v39, v60
	v_add_f16_e32 v30, v70, v30
	v_add_f16_e32 v32, v81, v32
	v_pack_b32_f16 v8, v61, v59
	v_pack_b32_f16 v9, v114, v90
	v_add_f16_e32 v35, v98, v35
	v_add_f16_e32 v37, v140, v37
	;; [unrolled: 4-line block ×3, first 2 shown]
	v_add_f16_e32 v3, v134, v44
	v_pack_b32_f16 v13, v22, v21
	v_pack_b32_f16 v14, v20, v19
	v_add_nc_u32_e32 v15, 0x400, v46
	v_add_f16_e32 v0, v2, v0
	ds_write2_b32 v46, v6, v7 offset1:50
	ds_write2_b32 v46, v8, v9 offset0:100 offset1:150
	ds_write2_b32 v46, v10, v12 offset0:200 offset1:250
	;; [unrolled: 1-line block ×3, first 2 shown]
	v_pack_b32_f16 v2, v18, v11
	v_pack_b32_f16 v6, v29, v28
	;; [unrolled: 1-line block ×4, first 2 shown]
	v_add_nc_u32_e32 v9, 0x600, v46
	v_pack_b32_f16 v10, v36, v35
	v_pack_b32_f16 v11, v38, v37
	v_add_nc_u32_e32 v12, 0x800, v46
	v_pack_b32_f16 v1, v1, v40
	v_pack_b32_f16 v3, v4, v3
	;; [unrolled: 1-line block ×3, first 2 shown]
	ds_write2_b32 v15, v2, v6 offset0:144 offset1:194
	ds_write2_b32 v9, v7, v8 offset0:116 offset1:166
	;; [unrolled: 1-line block ×4, first 2 shown]
	ds_write_b32 v46, v0 offset:3200
.LBB0_9:
	s_or_b32 exec_lo, exec_lo, s0
	s_waitcnt lgkmcnt(0)
	s_barrier
	buffer_gl0_inv
	ds_read2_b32 v[0:1], v46 offset1:85
	ds_read2_b32 v[2:3], v46 offset0:170 offset1:255
	s_mov_b32 s6, 0xace01346
	s_mov_b32 s7, 0x3f534679
	s_mul_i32 s3, s8, 0x154
	s_waitcnt lgkmcnt(1)
	v_lshrrev_b32_e32 v4, 16, v0
	v_mul_f16_sdwa v5, v56, v0 dst_sel:DWORD dst_unused:UNUSED_PAD src0_sel:WORD_1 src1_sel:DWORD
	v_lshrrev_b32_e32 v6, 16, v1
	v_mul_f16_sdwa v7, v55, v1 dst_sel:DWORD dst_unused:UNUSED_PAD src0_sel:WORD_1 src1_sel:DWORD
	s_waitcnt lgkmcnt(0)
	v_lshrrev_b32_e32 v18, 16, v2
	v_mul_f16_sdwa v9, v56, v4 dst_sel:DWORD dst_unused:UNUSED_PAD src0_sel:WORD_1 src1_sel:DWORD
	v_fma_f16 v8, v56, v4, -v5
	v_mul_f16_sdwa v12, v55, v6 dst_sel:DWORD dst_unused:UNUSED_PAD src0_sel:WORD_1 src1_sel:DWORD
	v_fma_f16 v7, v55, v6, -v7
	v_mad_u64_u32 v[4:5], null, s10, v24, 0
	v_cvt_f32_f16_e32 v8, v8
	v_fmac_f16_e32 v9, v56, v0
	v_cvt_f32_f16_e32 v0, v7
	v_fmac_f16_e32 v12, v55, v1
	v_mul_f16_sdwa v15, v53, v18 dst_sel:DWORD dst_unused:UNUSED_PAD src0_sel:WORD_1 src1_sel:DWORD
	v_cvt_f64_f32_e32 v[6:7], v8
	v_cvt_f32_f16_e32 v13, v9
	v_cvt_f64_f32_e32 v[10:11], v0
	v_cvt_f32_f16_e32 v14, v12
	v_mad_u64_u32 v[8:9], null, s8, v54, 0
	v_cvt_f64_f32_e32 v[0:1], v13
	v_fmac_f16_e32 v15, v53, v2
	v_mul_f16_sdwa v2, v53, v2 dst_sel:DWORD dst_unused:UNUSED_PAD src0_sel:WORD_1 src1_sel:DWORD
	v_fma_f16 v2, v53, v18, -v2
	v_mad_u64_u32 v[12:13], null, s11, v24, v[5:6]
	v_cvt_f64_f32_e32 v[13:14], v14
	v_mul_f64 v[6:7], v[6:7], s[6:7]
	v_cvt_f32_f16_e32 v5, v15
	v_mad_u64_u32 v[15:16], null, s9, v54, v[9:10]
	v_mul_f64 v[10:11], v[10:11], s[6:7]
	v_mul_f64 v[0:1], v[0:1], s[6:7]
	v_cvt_f64_f32_e32 v[16:17], v5
	v_mov_b32_e32 v5, v12
	v_mov_b32_e32 v9, v15
	v_lshlrev_b64 v[4:5], 2, v[4:5]
	v_lshlrev_b64 v[8:9], 2, v[8:9]
	v_add_co_u32 v12, vcc_lo, s4, v4
	v_add_co_ci_u32_e32 v15, vcc_lo, s5, v5, vcc_lo
	v_mul_f64 v[4:5], v[13:14], s[6:7]
	v_and_or_b32 v6, 0x1ff, v7, v6
	v_add_co_u32 v8, vcc_lo, v12, v8
	v_add_co_ci_u32_e32 v9, vcc_lo, v15, v9, vcc_lo
	v_and_or_b32 v10, 0x1ff, v11, v10
	v_cmp_ne_u32_e32 vcc_lo, 0, v6
	v_and_or_b32 v0, 0x1ff, v1, v0
	v_bfe_u32 v15, v7, 20, 11
	v_lshrrev_b32_e32 v19, 8, v1
	v_bfe_u32 v20, v1, 20, 11
	v_cndmask_b32_e64 v6, 0, 1, vcc_lo
	v_cmp_ne_u32_e32 vcc_lo, 0, v10
	v_mul_f64 v[12:13], v[16:17], s[6:7]
	v_lshrrev_b32_e32 v14, 8, v7
	v_lshrrev_b32_e32 v16, 8, v11
	v_sub_nc_u32_e32 v21, 0x3f1, v15
	v_cndmask_b32_e64 v10, 0, 1, vcc_lo
	v_cmp_ne_u32_e32 vcc_lo, 0, v0
	v_sub_nc_u32_e32 v25, 0x3f1, v20
	v_and_or_b32 v6, 0xffe, v14, v6
	v_and_or_b32 v4, 0x1ff, v5, v4
	v_bfe_u32 v23, v5, 20, 11
	v_cndmask_b32_e64 v0, 0, 1, vcc_lo
	v_lshrrev_b32_e32 v22, 8, v5
	v_med3_i32 v14, v21, 0, 13
	v_cmp_ne_u32_e32 vcc_lo, 0, v4
	v_add_nc_u32_e32 v21, 0xfffffc10, v23
	v_and_or_b32 v0, 0xffe, v19, v0
	v_sub_nc_u32_e32 v19, 0x3f1, v23
	v_and_or_b32 v10, 0xffe, v16, v10
	v_cndmask_b32_e64 v4, 0, 1, vcc_lo
	v_med3_i32 v16, v25, 0, 13
	v_or_b32_e32 v23, 0x1000, v0
	v_or_b32_e32 v25, 0x1000, v6
	v_add_nc_u32_e32 v15, 0xfffffc10, v15
	v_and_or_b32 v4, 0xffe, v22, v4
	v_cmp_ne_u32_e32 vcc_lo, 0, v6
	v_lshrrev_b32_e32 v22, v16, v23
	v_lshrrev_b32_e32 v27, v14, v25
	v_lshl_or_b32 v26, v15, 12, v6
	v_add_nc_u32_e32 v20, 0xfffffc10, v20
	v_cndmask_b32_e64 v6, 0, 1, vcc_lo
	v_lshlrev_b32_e32 v16, v16, v22
	v_lshlrev_b32_e32 v14, v14, v27
	v_med3_i32 v19, v19, 0, 13
	v_or_b32_e32 v28, 0x1000, v4
	v_lshl_or_b32 v30, v20, 12, v0
	v_cmp_ne_u32_e32 vcc_lo, v16, v23
	v_lshl_or_b32 v23, v21, 12, v4
	v_bfe_u32 v17, v11, 20, 11
	v_lshrrev_b32_e32 v31, v19, v28
	v_or_b32_e32 v29, 0x1000, v10
	v_cndmask_b32_e64 v16, 0, 1, vcc_lo
	v_cmp_ne_u32_e32 vcc_lo, v14, v25
	v_sub_nc_u32_e32 v24, 0x3f1, v17
	v_lshlrev_b32_e32 v19, v19, v31
	v_lshrrev_b32_e32 v1, 16, v1
	v_or_b32_e32 v16, v22, v16
	v_cndmask_b32_e64 v14, 0, 1, vcc_lo
	v_cmp_ne_u32_e32 vcc_lo, 0, v0
	v_med3_i32 v24, v24, 0, 13
	v_lshl_or_b32 v6, v6, 9, 0x7c00
	v_lshrrev_b32_e32 v7, 16, v7
	v_or_b32_e32 v14, v27, v14
	v_cndmask_b32_e64 v0, 0, 1, vcc_lo
	v_cmp_gt_i32_e32 vcc_lo, 1, v20
	v_and_or_b32 v12, 0x1ff, v13, v12
	v_lshrrev_b32_e32 v11, 16, v11
	v_lshl_or_b32 v0, v0, 9, 0x7c00
	v_cndmask_b32_e32 v16, v30, v16, vcc_lo
	v_cmp_gt_i32_e32 vcc_lo, 1, v15
	v_and_b32_e32 v22, 7, v16
	v_cndmask_b32_e32 v14, v26, v14, vcc_lo
	v_cmp_ne_u32_e32 vcc_lo, v19, v28
	v_lshrrev_b32_e32 v16, 2, v16
	v_cmp_eq_u32_e64 s0, 3, v22
	v_and_b32_e32 v25, 7, v14
	v_cndmask_b32_e64 v19, 0, 1, vcc_lo
	v_cmp_lt_i32_e32 vcc_lo, 5, v22
	v_lshrrev_b32_e32 v14, 2, v14
	v_cmp_lt_i32_e64 s1, 5, v25
	v_cmp_eq_u32_e64 s2, 3, v25
	s_or_b32 vcc_lo, s0, vcc_lo
	v_or_b32_e32 v19, v31, v19
	v_add_co_ci_u32_e32 v16, vcc_lo, 0, v16, vcc_lo
	s_or_b32 vcc_lo, s2, s1
	s_mul_hi_u32 s2, s8, 0x154
	v_add_co_ci_u32_e32 v14, vcc_lo, 0, v14, vcc_lo
	v_cmp_gt_i32_e32 vcc_lo, 31, v20
	v_cndmask_b32_e32 v16, 0x7c00, v16, vcc_lo
	v_cmp_gt_i32_e32 vcc_lo, 1, v21
	v_cndmask_b32_e32 v19, v23, v19, vcc_lo
	;; [unrolled: 2-line block ×3, first 2 shown]
	v_cmp_eq_u32_e32 vcc_lo, 0x40f, v20
	v_and_b32_e32 v20, 7, v19
	v_cndmask_b32_e32 v0, v16, v0, vcc_lo
	v_cmp_eq_u32_e32 vcc_lo, 0x40f, v15
	v_lshrrev_b32_e32 v16, v24, v29
	v_cmp_eq_u32_e64 s0, 3, v20
	v_and_or_b32 v0, 0x8000, v1, v0
	v_cndmask_b32_e32 v6, v14, v6, vcc_lo
	v_lshlrev_b32_e32 v1, v24, v16
	v_cmp_lt_i32_e32 vcc_lo, 5, v20
	v_add_nc_u32_e32 v14, 0xfffffc10, v17
	v_and_b32_e32 v0, 0xffff, v0
	v_and_or_b32 v6, 0x8000, v7, v6
	v_lshrrev_b32_e32 v7, 2, v19
	v_cmp_ne_u32_e64 s1, v1, v29
	s_or_b32 vcc_lo, s0, vcc_lo
	v_lshrrev_b32_e32 v19, 16, v5
	v_lshl_or_b32 v6, v6, 16, v0
	v_add_co_ci_u32_e32 v0, vcc_lo, 0, v7, vcc_lo
	v_cndmask_b32_e64 v1, 0, 1, s1
	v_cmp_ne_u32_e32 vcc_lo, 0, v4
	v_lshl_or_b32 v7, v14, 12, v10
	v_cmp_ne_u32_e64 s1, 0, v12
	v_lshrrev_b32_e32 v12, 8, v13
	v_or_b32_e32 v1, v16, v1
	v_cndmask_b32_e64 v4, 0, 1, vcc_lo
	v_cmp_gt_i32_e32 vcc_lo, 1, v14
	v_lshrrev_b32_e32 v16, 16, v3
	global_store_dword v[8:9], v6, off
	v_lshl_or_b32 v4, v4, 9, 0x7c00
	v_cndmask_b32_e32 v7, v7, v1, vcc_lo
	v_cvt_f32_f16_e32 v1, v2
	v_cmp_gt_i32_e32 vcc_lo, 31, v21
	v_mul_f16_sdwa v17, v52, v16 dst_sel:DWORD dst_unused:UNUSED_PAD src0_sel:WORD_1 src1_sel:DWORD
	v_and_b32_e32 v15, 7, v7
	v_cndmask_b32_e32 v2, 0x7c00, v0, vcc_lo
	v_cvt_f64_f32_e32 v[0:1], v1
	v_cmp_eq_u32_e32 vcc_lo, 0x40f, v21
	v_cmp_eq_u32_e64 s0, 3, v15
	v_fmac_f16_e32 v17, v52, v3
	v_mul_f16_sdwa v3, v52, v3 dst_sel:DWORD dst_unused:UNUSED_PAD src0_sel:WORD_1 src1_sel:DWORD
	v_cndmask_b32_e32 v2, v2, v4, vcc_lo
	v_cmp_lt_i32_e32 vcc_lo, 5, v15
	v_lshrrev_b32_e32 v4, 2, v7
	v_cndmask_b32_e64 v7, 0, 1, s1
	v_bfe_u32 v15, v13, 20, 11
	v_cvt_f32_f16_e32 v5, v17
	s_or_b32 vcc_lo, s0, vcc_lo
	v_and_or_b32 v2, 0x8000, v19, v2
	v_and_or_b32 v12, 0xffe, v12, v7
	v_sub_nc_u32_e32 v7, 0x3f1, v15
	v_add_co_ci_u32_e32 v4, vcc_lo, 0, v4, vcc_lo
	v_cmp_ne_u32_e32 vcc_lo, 0, v10
	v_or_b32_e32 v18, 0x1000, v12
	v_med3_i32 v7, v7, 0, 13
	v_and_b32_e32 v2, 0xffff, v2
	v_mul_f64 v[0:1], v[0:1], s[6:7]
	v_cndmask_b32_e64 v10, 0, 1, vcc_lo
	v_cmp_gt_i32_e32 vcc_lo, 31, v14
	v_lshrrev_b32_e32 v20, v7, v18
	s_mul_i32 s0, s9, 0x154
	v_fma_f16 v16, v52, v16, -v3
	v_lshl_or_b32 v10, v10, 9, 0x7c00
	v_cndmask_b32_e32 v4, 0x7c00, v4, vcc_lo
	v_cmp_eq_u32_e32 vcc_lo, 0x40f, v14
	v_lshlrev_b32_e32 v7, v7, v20
	s_add_i32 s2, s2, s0
	v_cndmask_b32_e32 v10, v4, v10, vcc_lo
	v_cmp_ne_u32_e32 vcc_lo, v7, v18
	v_cvt_f64_f32_e32 v[4:5], v5
	v_and_or_b32 v6, 0x8000, v11, v10
	v_cndmask_b32_e64 v7, 0, 1, vcc_lo
	v_add_nc_u32_e32 v10, 0xfffffc10, v15
	v_and_or_b32 v0, 0x1ff, v1, v0
	v_lshl_or_b32 v14, v6, 16, v2
	v_or_b32_e32 v7, v20, v7
	v_lshl_or_b32 v11, v10, 12, v12
	v_cmp_gt_i32_e32 vcc_lo, 1, v10
	v_lshrrev_b32_e32 v6, 8, v1
	v_lshrrev_b32_e32 v21, 16, v1
	v_cndmask_b32_e32 v2, v11, v7, vcc_lo
	v_cmp_ne_u32_e32 vcc_lo, 0, v0
	v_bfe_u32 v11, v1, 20, 11
	v_and_b32_e32 v7, 7, v2
	v_cndmask_b32_e64 v0, 0, 1, vcc_lo
	v_mul_f64 v[4:5], v[4:5], s[6:7]
	v_lshrrev_b32_e32 v2, 2, v2
	v_add_nc_u32_e32 v18, 0xfffffc10, v11
	v_cmp_lt_i32_e32 vcc_lo, 5, v7
	v_and_or_b32 v0, 0xffe, v6, v0
	v_sub_nc_u32_e32 v6, 0x3f1, v11
	v_cmp_eq_u32_e64 s0, 3, v7
	v_or_b32_e32 v15, 0x1000, v0
	v_med3_i32 v6, v6, 0, 13
	s_or_b32 vcc_lo, s0, vcc_lo
	v_add_co_ci_u32_e32 v7, vcc_lo, 0, v2, vcc_lo
	v_lshrrev_b32_e32 v17, v6, v15
	v_add_co_u32 v2, vcc_lo, v8, s3
	v_add_co_ci_u32_e32 v3, vcc_lo, s2, v9, vcc_lo
	v_lshlrev_b32_e32 v9, v6, v17
	v_cmp_gt_i32_e32 vcc_lo, 31, v10
	v_cvt_f32_f16_e32 v8, v16
	v_and_or_b32 v4, 0x1ff, v5, v4
	v_lshrrev_b32_e32 v11, 8, v5
	v_bfe_u32 v19, v5, 20, 11
	v_cndmask_b32_e32 v16, 0x7c00, v7, vcc_lo
	v_cmp_ne_u32_e32 vcc_lo, v9, v15
	v_cvt_f64_f32_e32 v[6:7], v8
	v_add_nc_u32_e32 v8, 0x400, v46
	global_store_dword v[2:3], v14, off
	v_lshrrev_b32_e32 v5, 16, v5
	v_cndmask_b32_e64 v15, 0, 1, vcc_lo
	v_cmp_ne_u32_e32 vcc_lo, 0, v4
	ds_read2_b32 v[8:9], v8 offset0:84 offset1:169
	v_or_b32_e32 v15, v17, v15
	v_cndmask_b32_e64 v4, 0, 1, vcc_lo
	v_cmp_ne_u32_e32 vcc_lo, 0, v12
	v_lshl_or_b32 v17, v18, 12, v0
	v_and_or_b32 v4, 0xffe, v11, v4
	v_cndmask_b32_e64 v12, 0, 1, vcc_lo
	v_sub_nc_u32_e32 v11, 0x3f1, v19
	v_cmp_gt_i32_e32 vcc_lo, 1, v18
	v_lshl_or_b32 v12, v12, 9, 0x7c00
	v_med3_i32 v11, v11, 0, 13
	v_cndmask_b32_e32 v15, v17, v15, vcc_lo
	v_or_b32_e32 v17, 0x1000, v4
	v_cmp_eq_u32_e32 vcc_lo, 0x40f, v10
	v_mul_f64 v[6:7], v[6:7], s[6:7]
	s_waitcnt lgkmcnt(0)
	v_lshrrev_b32_e32 v14, 16, v8
	v_cndmask_b32_e32 v10, v16, v12, vcc_lo
	v_lshrrev_b32_e32 v12, 16, v13
	v_lshrrev_b32_e32 v13, v11, v17
	v_and_b32_e32 v16, 7, v15
	v_lshrrev_b32_e32 v15, 2, v15
	v_and_or_b32 v12, 0x8000, v12, v10
	v_lshlrev_b32_e32 v10, v11, v13
	v_cmp_lt_i32_e32 vcc_lo, 5, v16
	v_cmp_eq_u32_e64 s0, 3, v16
	v_mul_f16_sdwa v11, v51, v14 dst_sel:DWORD dst_unused:UNUSED_PAD src0_sel:WORD_1 src1_sel:DWORD
	v_add_nc_u32_e32 v16, 0xfffffc10, v19
	v_cmp_ne_u32_e64 s1, v10, v17
	v_and_b32_e32 v12, 0xffff, v12
	s_or_b32 vcc_lo, s0, vcc_lo
	v_fmac_f16_e32 v11, v51, v8
	v_add_co_ci_u32_e32 v15, vcc_lo, 0, v15, vcc_lo
	v_cndmask_b32_e64 v10, 0, 1, s1
	v_cmp_ne_u32_e32 vcc_lo, 0, v0
	v_lshl_or_b32 v17, v16, 12, v4
	v_and_or_b32 v6, 0x1ff, v7, v6
	v_bfe_u32 v19, v7, 20, 11
	v_or_b32_e32 v13, v13, v10
	v_cndmask_b32_e64 v0, 0, 1, vcc_lo
	v_cmp_gt_i32_e32 vcc_lo, 1, v16
	v_cvt_f32_f16_e32 v10, v11
	v_mul_f16_sdwa v8, v51, v8 dst_sel:DWORD dst_unused:UNUSED_PAD src0_sel:WORD_1 src1_sel:DWORD
	v_lshl_or_b32 v0, v0, 9, 0x7c00
	v_cndmask_b32_e32 v13, v17, v13, vcc_lo
	v_cmp_ne_u32_e32 vcc_lo, 0, v6
	v_cvt_f64_f32_e32 v[10:11], v10
	v_lshrrev_b32_e32 v17, 8, v7
	v_fma_f16 v8, v51, v14, -v8
	v_and_b32_e32 v20, 7, v13
	v_cndmask_b32_e64 v6, 0, 1, vcc_lo
	v_cmp_gt_i32_e32 vcc_lo, 31, v18
	v_lshrrev_b32_e32 v7, 16, v7
	v_cvt_f32_f16_e32 v8, v8
	v_cmp_eq_u32_e64 s0, 3, v20
	v_and_or_b32 v6, 0xffe, v17, v6
	v_sub_nc_u32_e32 v17, 0x3f1, v19
	v_cndmask_b32_e32 v15, 0x7c00, v15, vcc_lo
	v_cmp_eq_u32_e32 vcc_lo, 0x40f, v18
	v_or_b32_e32 v18, 0x1000, v6
	v_med3_i32 v17, v17, 0, 13
	v_cndmask_b32_e32 v15, v15, v0, vcc_lo
	v_cmp_lt_i32_e32 vcc_lo, 5, v20
	v_lshrrev_b32_e32 v20, v17, v18
	v_mul_f64 v[0:1], v[10:11], s[6:7]
	v_lshrrev_b32_e32 v10, 2, v13
	s_or_b32 vcc_lo, s0, vcc_lo
	v_lshlrev_b32_e32 v11, v17, v20
	v_add_nc_u32_e32 v17, 0xfffffc10, v19
	v_and_or_b32 v15, 0x8000, v21, v15
	v_add_co_ci_u32_e32 v13, vcc_lo, 0, v10, vcc_lo
	v_cmp_ne_u32_e32 vcc_lo, v11, v18
	v_cvt_f64_f32_e32 v[10:11], v8
	v_lshrrev_b32_e32 v18, 16, v9
	v_lshl_or_b32 v15, v15, 16, v12
	v_cndmask_b32_e64 v14, 0, 1, vcc_lo
	v_cmp_ne_u32_e32 vcc_lo, 0, v4
	v_or_b32_e32 v8, v20, v14
	v_cndmask_b32_e64 v4, 0, 1, vcc_lo
	v_cmp_gt_i32_e32 vcc_lo, 31, v16
	v_lshl_or_b32 v14, v17, 12, v6
	v_and_or_b32 v0, 0x1ff, v1, v0
	v_lshl_or_b32 v4, v4, 9, 0x7c00
	v_cndmask_b32_e32 v13, 0x7c00, v13, vcc_lo
	v_cmp_gt_i32_e32 vcc_lo, 1, v17
	v_cndmask_b32_e32 v8, v14, v8, vcc_lo
	v_cmp_eq_u32_e32 vcc_lo, 0x40f, v16
	v_lshrrev_b32_e32 v14, 8, v1
	v_bfe_u32 v16, v1, 20, 11
	v_mul_f64 v[10:11], v[10:11], s[6:7]
	v_cndmask_b32_e32 v4, v13, v4, vcc_lo
	v_and_b32_e32 v13, 7, v8
	v_cmp_ne_u32_e32 vcc_lo, 0, v0
	v_lshrrev_b32_e32 v8, 2, v8
	v_cmp_eq_u32_e64 s0, 3, v13
	v_cndmask_b32_e64 v0, 0, 1, vcc_lo
	v_cmp_lt_i32_e32 vcc_lo, 5, v13
	v_sub_nc_u32_e32 v13, 0x3f1, v16
	v_and_or_b32 v0, 0xffe, v14, v0
	s_or_b32 vcc_lo, s0, vcc_lo
	v_med3_i32 v13, v13, 0, 13
	v_add_co_ci_u32_e32 v8, vcc_lo, 0, v8, vcc_lo
	v_cmp_ne_u32_e32 vcc_lo, 0, v6
	v_or_b32_e32 v14, 0x1000, v0
	v_cndmask_b32_e64 v6, 0, 1, vcc_lo
	v_cmp_gt_i32_e32 vcc_lo, 31, v17
	v_lshrrev_b32_e32 v19, v13, v14
	v_lshl_or_b32 v6, v6, 9, 0x7c00
	v_cndmask_b32_e32 v8, 0x7c00, v8, vcc_lo
	v_cmp_eq_u32_e32 vcc_lo, 0x40f, v17
	v_lshlrev_b32_e32 v12, v13, v19
	v_and_or_b32 v13, 0x8000, v5, v4
	v_and_or_b32 v4, 0x1ff, v11, v10
	v_add_nc_u32_e32 v10, 0xfffffc10, v16
	v_cndmask_b32_e32 v6, v8, v6, vcc_lo
	v_mul_f16_sdwa v8, v50, v18 dst_sel:DWORD dst_unused:UNUSED_PAD src0_sel:WORD_1 src1_sel:DWORD
	v_cmp_ne_u32_e32 vcc_lo, v12, v14
	v_lshrrev_b32_e32 v12, 8, v11
	v_bfe_u32 v14, v11, 20, 11
	v_and_or_b32 v6, 0x8000, v7, v6
	v_fmac_f16_e32 v8, v50, v9
	v_cndmask_b32_e64 v7, 0, 1, vcc_lo
	v_cmp_ne_u32_e32 vcc_lo, 0, v4
	v_lshl_or_b32 v16, v10, 12, v0
	v_mul_f16_sdwa v9, v50, v9 dst_sel:DWORD dst_unused:UNUSED_PAD src0_sel:WORD_1 src1_sel:DWORD
	v_cvt_f32_f16_e32 v5, v8
	v_or_b32_e32 v7, v19, v7
	v_cndmask_b32_e64 v8, 0, 1, vcc_lo
	v_cmp_gt_i32_e32 vcc_lo, 1, v10
	v_fma_f16 v9, v50, v18, -v9
	v_cvt_f64_f32_e32 v[4:5], v5
	v_lshrrev_b32_e32 v11, 16, v11
	v_and_or_b32 v17, 0xffe, v12, v8
	v_sub_nc_u32_e32 v8, 0x3f1, v14
	v_and_b32_e32 v12, 0xffff, v13
	v_cndmask_b32_e32 v13, v16, v7, vcc_lo
	v_add_co_u32 v2, vcc_lo, v2, s3
	v_or_b32_e32 v16, 0x1000, v17
	v_med3_i32 v8, v8, 0, 13
	v_add_co_ci_u32_e32 v3, vcc_lo, s2, v3, vcc_lo
	v_lshl_or_b32 v19, v6, 16, v12
	v_and_b32_e32 v12, 7, v13
	v_lshrrev_b32_e32 v20, v8, v16
	v_add_co_u32 v6, vcc_lo, v2, s3
	v_add_co_ci_u32_e32 v7, vcc_lo, s2, v3, vcc_lo
	v_lshlrev_b32_e32 v8, v8, v20
	v_cmp_lt_i32_e32 vcc_lo, 5, v12
	v_cmp_eq_u32_e64 s0, 3, v12
	v_mul_f64 v[4:5], v[4:5], s[6:7]
	v_lshrrev_b32_e32 v12, 2, v13
	v_cmp_ne_u32_e64 s1, v8, v16
	v_cvt_f32_f16_e32 v9, v9
	s_or_b32 vcc_lo, s0, vcc_lo
	v_add_nc_u32_e32 v14, 0xfffffc10, v14
	v_add_co_ci_u32_e32 v16, vcc_lo, 0, v12, vcc_lo
	v_cndmask_b32_e64 v8, 0, 1, s1
	v_cmp_ne_u32_e32 vcc_lo, 0, v0
	v_add_nc_u32_e32 v13, 0x600, v46
	v_or_b32_e32 v18, v20, v8
	v_cvt_f64_f32_e32 v[8:9], v9
	v_lshl_or_b32 v20, v14, 12, v17
	v_cndmask_b32_e64 v0, 0, 1, vcc_lo
	v_cmp_gt_i32_e32 vcc_lo, 1, v14
	ds_read2_b32 v[12:13], v13 offset0:126 offset1:211
	global_store_dword v[2:3], v15, off
	global_store_dword v[6:7], v19, off
	v_lshl_or_b32 v0, v0, 9, 0x7c00
	v_cndmask_b32_e32 v18, v20, v18, vcc_lo
	v_and_or_b32 v4, 0x1ff, v5, v4
	v_cmp_gt_i32_e32 vcc_lo, 31, v10
	v_lshrrev_b32_e32 v21, 8, v5
	v_bfe_u32 v22, v5, 20, 11
	v_and_b32_e32 v20, 7, v18
	v_lshrrev_b32_e32 v5, 16, v5
	v_cndmask_b32_e32 v16, 0x7c00, v16, vcc_lo
	v_cmp_ne_u32_e32 vcc_lo, 0, v4
	v_cmp_eq_u32_e64 s0, 3, v20
	v_cndmask_b32_e64 v4, 0, 1, vcc_lo
	v_cmp_eq_u32_e32 vcc_lo, 0x40f, v10
	s_waitcnt lgkmcnt(0)
	v_lshrrev_b32_e32 v23, 16, v12
	v_and_or_b32 v4, 0xffe, v21, v4
	v_cndmask_b32_e32 v10, v16, v0, vcc_lo
	v_cmp_lt_i32_e32 vcc_lo, 5, v20
	v_lshrrev_b32_e32 v16, 16, v1
	v_mul_f64 v[0:1], v[8:9], s[6:7]
	v_lshrrev_b32_e32 v8, 2, v18
	v_sub_nc_u32_e32 v21, 0x3f1, v22
	s_or_b32 vcc_lo, s0, vcc_lo
	v_or_b32_e32 v18, 0x1000, v4
	v_mul_f16_sdwa v20, v49, v23 dst_sel:DWORD dst_unused:UNUSED_PAD src0_sel:WORD_1 src1_sel:DWORD
	v_add_co_ci_u32_e32 v8, vcc_lo, 0, v8, vcc_lo
	v_med3_i32 v9, v21, 0, 13
	v_cmp_ne_u32_e32 vcc_lo, 0, v17
	v_and_or_b32 v10, 0x8000, v16, v10
	v_fmac_f16_e32 v20, v49, v12
	v_lshrrev_b32_e32 v21, v9, v18
	v_cndmask_b32_e64 v17, 0, 1, vcc_lo
	v_cmp_gt_i32_e32 vcc_lo, 31, v14
	v_and_b32_e32 v10, 0xffff, v10
	v_lshlrev_b32_e32 v16, v9, v21
	v_lshl_or_b32 v17, v17, 9, 0x7c00
	v_cndmask_b32_e32 v8, 0x7c00, v8, vcc_lo
	v_cmp_eq_u32_e32 vcc_lo, 0x40f, v14
	v_and_or_b32 v0, 0x1ff, v1, v0
	v_cvt_f32_f16_e32 v9, v20
	v_bfe_u32 v20, v1, 20, 11
	v_cndmask_b32_e32 v14, v8, v17, vcc_lo
	v_cmp_ne_u32_e32 vcc_lo, v16, v18
	v_cvt_f64_f32_e32 v[8:9], v9
	v_add_nc_u32_e32 v17, 0xfffffc10, v22
	v_lshrrev_b32_e32 v18, 8, v1
	v_and_or_b32 v11, 0x8000, v11, v14
	v_cndmask_b32_e64 v16, 0, 1, vcc_lo
	v_cmp_ne_u32_e32 vcc_lo, 0, v0
	v_lshl_or_b32 v10, v11, 16, v10
	v_or_b32_e32 v14, v21, v16
	v_cndmask_b32_e64 v0, 0, 1, vcc_lo
	v_lshl_or_b32 v16, v17, 12, v4
	v_cmp_gt_i32_e32 vcc_lo, 1, v17
	v_and_or_b32 v0, 0xffe, v18, v0
	v_sub_nc_u32_e32 v18, 0x3f1, v20
	v_cndmask_b32_e32 v14, v16, v14, vcc_lo
	v_add_co_u32 v6, vcc_lo, v6, s3
	v_or_b32_e32 v16, 0x1000, v0
	v_med3_i32 v18, v18, 0, 13
	v_and_b32_e32 v11, 7, v14
	v_mul_f64 v[2:3], v[8:9], s[6:7]
	v_add_co_ci_u32_e32 v7, vcc_lo, s2, v7, vcc_lo
	v_lshrrev_b32_e32 v15, v18, v16
	v_cmp_lt_i32_e32 vcc_lo, 5, v11
	v_cmp_eq_u32_e64 s0, 3, v11
	v_mul_f16_sdwa v9, v49, v12 dst_sel:DWORD dst_unused:UNUSED_PAD src0_sel:WORD_1 src1_sel:DWORD
	v_lshrrev_b32_e32 v11, 2, v14
	v_lshlrev_b32_e32 v8, v18, v15
	v_add_nc_u32_e32 v12, 0xfffffc10, v20
	s_or_b32 vcc_lo, s0, vcc_lo
	v_fma_f16 v9, v49, v23, -v9
	v_add_co_ci_u32_e32 v11, vcc_lo, 0, v11, vcc_lo
	v_cmp_ne_u32_e64 s1, v8, v16
	v_cmp_ne_u32_e32 vcc_lo, 0, v4
	v_cvt_f32_f16_e32 v9, v9
	global_store_dword v[6:7], v10, off
	v_cndmask_b32_e64 v8, 0, 1, s1
	v_cndmask_b32_e64 v4, 0, 1, vcc_lo
	v_cmp_gt_i32_e32 vcc_lo, 1, v12
	v_and_or_b32 v2, 0x1ff, v3, v2
	v_lshrrev_b32_e32 v16, 8, v3
	v_or_b32_e32 v14, v15, v8
	v_lshl_or_b32 v15, v12, 12, v0
	v_cvt_f64_f32_e32 v[8:9], v9
	v_lshl_or_b32 v4, v4, 9, 0x7c00
	v_bfe_u32 v18, v3, 20, 11
	v_lshrrev_b32_e32 v3, 16, v3
	v_cndmask_b32_e32 v14, v15, v14, vcc_lo
	v_cmp_gt_i32_e32 vcc_lo, 31, v17
	v_and_b32_e32 v15, 7, v14
	v_cndmask_b32_e32 v11, 0x7c00, v11, vcc_lo
	v_cmp_ne_u32_e32 vcc_lo, 0, v2
	v_lshrrev_b32_e32 v14, 2, v14
	v_cmp_eq_u32_e64 s0, 3, v15
	v_cndmask_b32_e64 v2, 0, 1, vcc_lo
	v_cmp_eq_u32_e32 vcc_lo, 0x40f, v17
	v_and_or_b32 v2, 0xffe, v16, v2
	v_cndmask_b32_e32 v4, v11, v4, vcc_lo
	v_cmp_lt_i32_e32 vcc_lo, 5, v15
	v_lshrrev_b32_e32 v15, 16, v13
	v_mul_f64 v[8:9], v[8:9], s[6:7]
	v_sub_nc_u32_e32 v11, 0x3f1, v18
	v_or_b32_e32 v16, 0x1000, v2
	s_or_b32 vcc_lo, s0, vcc_lo
	v_mul_f16_sdwa v17, v48, v15 dst_sel:DWORD dst_unused:UNUSED_PAD src0_sel:WORD_1 src1_sel:DWORD
	v_add_co_ci_u32_e32 v14, vcc_lo, 0, v14, vcc_lo
	v_cmp_ne_u32_e32 vcc_lo, 0, v0
	v_med3_i32 v11, v11, 0, 13
	v_fmac_f16_e32 v17, v48, v13
	v_and_or_b32 v4, 0x8000, v5, v4
	v_mul_f16_sdwa v13, v48, v13 dst_sel:DWORD dst_unused:UNUSED_PAD src0_sel:WORD_1 src1_sel:DWORD
	v_cndmask_b32_e64 v0, 0, 1, vcc_lo
	v_cmp_gt_i32_e32 vcc_lo, 31, v12
	v_lshrrev_b32_e32 v19, v11, v16
	v_cvt_f32_f16_e32 v17, v17
	v_and_b32_e32 v4, 0xffff, v4
	v_lshl_or_b32 v0, v0, 9, 0x7c00
	v_cndmask_b32_e32 v14, 0x7c00, v14, vcc_lo
	v_cmp_eq_u32_e32 vcc_lo, 0x40f, v12
	v_lshlrev_b32_e32 v11, v11, v19
	v_and_or_b32 v8, 0x1ff, v9, v8
	v_cndmask_b32_e32 v12, v14, v0, vcc_lo
	v_lshrrev_b32_e32 v14, 16, v1
	v_cvt_f64_f32_e32 v[0:1], v17
	v_cmp_ne_u32_e32 vcc_lo, v11, v16
	v_add_nc_u32_e32 v16, 0xfffffc10, v18
	v_bfe_u32 v17, v9, 20, 11
	v_and_or_b32 v5, 0x8000, v14, v12
	v_lshrrev_b32_e32 v14, 8, v9
	v_cndmask_b32_e64 v11, 0, 1, vcc_lo
	v_cmp_ne_u32_e32 vcc_lo, 0, v8
	v_lshl_or_b32 v12, v16, 12, v2
	v_lshrrev_b32_e32 v9, 16, v9
	v_or_b32_e32 v11, v19, v11
	v_cndmask_b32_e64 v8, 0, 1, vcc_lo
	v_cmp_gt_i32_e32 vcc_lo, 1, v16
	v_and_or_b32 v8, 0xffe, v14, v8
	v_cndmask_b32_e32 v11, v12, v11, vcc_lo
	v_sub_nc_u32_e32 v12, 0x3f1, v17
	v_lshl_or_b32 v14, v5, 16, v4
	v_add_co_u32 v4, vcc_lo, v6, s3
	v_mul_f64 v[0:1], v[0:1], s[6:7]
	v_or_b32_e32 v18, 0x1000, v8
	v_med3_i32 v12, v12, 0, 13
	v_and_b32_e32 v10, 7, v11
	v_add_co_ci_u32_e32 v5, vcc_lo, s2, v7, vcc_lo
	v_lshrrev_b32_e32 v7, 2, v11
	v_lshrrev_b32_e32 v19, v12, v18
	v_cmp_lt_i32_e32 vcc_lo, 5, v10
	v_cmp_eq_u32_e64 s0, 3, v10
	v_fma_f16 v6, v48, v15, -v13
	v_add_nc_u32_e32 v11, 0x800, v46
	v_lshlrev_b32_e32 v10, v12, v19
	s_or_b32 vcc_lo, s0, vcc_lo
	v_cvt_f32_f16_e32 v12, v6
	v_add_co_ci_u32_e32 v13, vcc_lo, 0, v7, vcc_lo
	v_cmp_ne_u32_e32 vcc_lo, v10, v18
	ds_read2_b32 v[6:7], v11 offset0:168 offset1:253
	v_cvt_f64_f32_e32 v[10:11], v12
	v_add_nc_u32_e32 v12, 0xfffffc10, v17
	v_and_or_b32 v0, 0x1ff, v1, v0
	v_cndmask_b32_e64 v15, 0, 1, vcc_lo
	v_cmp_gt_i32_e32 vcc_lo, 31, v16
	v_lshrrev_b32_e32 v18, 8, v1
	v_lshl_or_b32 v17, v12, 12, v8
	v_or_b32_e32 v15, v19, v15
	v_cndmask_b32_e32 v13, 0x7c00, v13, vcc_lo
	v_cmp_ne_u32_e32 vcc_lo, 0, v0
	v_bfe_u32 v19, v1, 20, 11
	v_cndmask_b32_e64 v0, 0, 1, vcc_lo
	v_cmp_ne_u32_e32 vcc_lo, 0, v2
	v_and_or_b32 v0, 0xffe, v18, v0
	v_cndmask_b32_e64 v2, 0, 1, vcc_lo
	v_cmp_gt_i32_e32 vcc_lo, 1, v12
	s_waitcnt lgkmcnt(0)
	v_lshrrev_b32_e32 v18, 16, v6
	v_mul_f64 v[10:11], v[10:11], s[6:7]
	v_or_b32_e32 v21, 0x1000, v0
	v_lshl_or_b32 v2, v2, 9, 0x7c00
	v_cndmask_b32_e32 v15, v17, v15, vcc_lo
	v_sub_nc_u32_e32 v17, 0x3f1, v19
	v_cmp_eq_u32_e32 vcc_lo, 0x40f, v16
	v_mul_f16_sdwa v22, v47, v18 dst_sel:DWORD dst_unused:UNUSED_PAD src0_sel:WORD_1 src1_sel:DWORD
	v_add_nc_u32_e32 v19, 0xfffffc10, v19
	v_and_b32_e32 v20, 7, v15
	v_med3_i32 v17, v17, 0, 13
	v_cndmask_b32_e32 v2, v13, v2, vcc_lo
	v_fmac_f16_e32 v22, v47, v6
	v_mul_f16_sdwa v6, v47, v6 dst_sel:DWORD dst_unused:UNUSED_PAD src0_sel:WORD_1 src1_sel:DWORD
	v_cmp_lt_i32_e32 vcc_lo, 5, v20
	v_lshrrev_b32_e32 v13, v17, v21
	v_cmp_eq_u32_e64 s0, 3, v20
	v_and_or_b32 v16, 0x8000, v3, v2
	v_lshrrev_b32_e32 v2, 2, v15
	v_cvt_f32_f16_e32 v15, v22
	v_lshlrev_b32_e32 v3, v17, v13
	s_or_b32 vcc_lo, s0, vcc_lo
	v_fma_f16 v6, v47, v18, -v6
	v_add_co_ci_u32_e32 v17, vcc_lo, 0, v2, vcc_lo
	v_cmp_ne_u32_e32 vcc_lo, v3, v21
	v_cvt_f64_f32_e32 v[2:3], v15
	v_lshl_or_b32 v15, v19, 12, v0
	v_and_or_b32 v10, 0x1ff, v11, v10
	v_cvt_f32_f16_e32 v6, v6
	v_cndmask_b32_e64 v20, 0, 1, vcc_lo
	v_cmp_ne_u32_e32 vcc_lo, 0, v8
	v_or_b32_e32 v13, v13, v20
	v_cndmask_b32_e64 v8, 0, 1, vcc_lo
	v_cmp_gt_i32_e32 vcc_lo, 31, v12
	v_bfe_u32 v20, v11, 20, 11
	v_lshl_or_b32 v8, v8, 9, 0x7c00
	v_cndmask_b32_e32 v17, 0x7c00, v17, vcc_lo
	v_cmp_gt_i32_e32 vcc_lo, 1, v19
	v_cndmask_b32_e32 v13, v15, v13, vcc_lo
	v_cmp_ne_u32_e32 vcc_lo, 0, v10
	v_lshrrev_b32_e32 v15, 8, v11
	v_mul_f64 v[2:3], v[2:3], s[6:7]
	v_and_b32_e32 v21, 7, v13
	v_cndmask_b32_e64 v10, 0, 1, vcc_lo
	v_cmp_eq_u32_e32 vcc_lo, 0x40f, v12
	v_sub_nc_u32_e32 v12, 0x3f1, v20
	v_cmp_eq_u32_e64 s0, 3, v21
	v_and_or_b32 v10, 0xffe, v15, v10
	v_cndmask_b32_e32 v8, v17, v8, vcc_lo
	v_cmp_lt_i32_e32 vcc_lo, 5, v21
	v_med3_i32 v12, v12, 0, 13
	v_or_b32_e32 v15, 0x1000, v10
	v_and_or_b32 v8, 0x8000, v9, v8
	v_lshrrev_b32_e32 v9, 2, v13
	s_or_b32 vcc_lo, s0, vcc_lo
	v_and_b32_e32 v13, 0xffff, v16
	v_lshrrev_b32_e32 v16, v12, v15
	v_add_co_ci_u32_e32 v9, vcc_lo, 0, v9, vcc_lo
	v_cmp_ne_u32_e32 vcc_lo, 0, v0
	v_lshl_or_b32 v17, v8, 16, v13
	v_lshlrev_b32_e32 v8, v12, v16
	v_and_or_b32 v2, 0x1ff, v3, v2
	v_bfe_u32 v18, v3, 20, 11
	v_cndmask_b32_e64 v0, 0, 1, vcc_lo
	v_cmp_gt_i32_e32 vcc_lo, 31, v19
	v_lshl_or_b32 v0, v0, 9, 0x7c00
	v_cndmask_b32_e32 v9, 0x7c00, v9, vcc_lo
	v_cmp_ne_u32_e32 vcc_lo, v8, v15
	v_add_nc_u32_e32 v15, 0xfffffc10, v20
	v_cndmask_b32_e64 v8, 0, 1, vcc_lo
	v_cmp_eq_u32_e32 vcc_lo, 0x40f, v19
	v_lshl_or_b32 v13, v15, 12, v10
	v_cndmask_b32_e32 v12, v9, v0, vcc_lo
	v_cmp_ne_u32_e32 vcc_lo, 0, v2
	v_or_b32_e32 v0, v16, v8
	v_lshrrev_b32_e32 v16, 8, v3
	v_cvt_f64_f32_e32 v[8:9], v6
	v_lshrrev_b32_e32 v3, 16, v3
	v_cndmask_b32_e64 v2, 0, 1, vcc_lo
	v_cmp_gt_i32_e32 vcc_lo, 1, v15
	v_and_or_b32 v2, 0xffe, v16, v2
	v_cndmask_b32_e32 v6, v13, v0, vcc_lo
	v_sub_nc_u32_e32 v0, 0x3f1, v18
	v_lshrrev_b32_e32 v16, 16, v7
	v_lshrrev_b32_e32 v13, 16, v1
	v_or_b32_e32 v20, 0x1000, v2
	v_and_b32_e32 v19, 7, v6
	v_med3_i32 v21, v0, 0, 13
	v_mul_f16_sdwa v22, v45, v16 dst_sel:DWORD dst_unused:UNUSED_PAD src0_sel:WORD_1 src1_sel:DWORD
	v_add_co_u32 v0, vcc_lo, v4, s3
	v_add_co_ci_u32_e32 v1, vcc_lo, s2, v5, vcc_lo
	v_lshrrev_b32_e32 v24, v21, v20
	v_cmp_lt_i32_e32 vcc_lo, 5, v19
	v_cmp_eq_u32_e64 s0, 3, v19
	v_fmac_f16_e32 v22, v45, v7
	v_lshrrev_b32_e32 v6, 2, v6
	v_lshlrev_b32_e32 v19, v21, v24
	v_and_or_b32 v23, 0x8000, v13, v12
	s_or_b32 vcc_lo, s0, vcc_lo
	v_cvt_f32_f16_e32 v12, v22
	v_add_co_ci_u32_e32 v6, vcc_lo, 0, v6, vcc_lo
	v_mul_f64 v[8:9], v[8:9], s[6:7]
	v_cmp_ne_u32_e32 vcc_lo, v19, v20
	v_cvt_f64_f32_e32 v[12:13], v12
	v_add_nc_u32_e32 v18, 0xfffffc10, v18
	v_mul_f16_sdwa v7, v45, v7 dst_sel:DWORD dst_unused:UNUSED_PAD src0_sel:WORD_1 src1_sel:DWORD
	v_cndmask_b32_e64 v19, 0, 1, vcc_lo
	v_cmp_ne_u32_e32 vcc_lo, 0, v10
	v_lshl_or_b32 v20, v18, 12, v2
	v_fma_f16 v7, v45, v16, -v7
	v_or_b32_e32 v19, v24, v19
	v_cndmask_b32_e64 v10, 0, 1, vcc_lo
	v_cmp_gt_i32_e32 vcc_lo, 31, v15
	v_cvt_f32_f16_e32 v7, v7
	v_lshl_or_b32 v10, v10, 9, 0x7c00
	v_cndmask_b32_e32 v6, 0x7c00, v6, vcc_lo
	v_cmp_gt_i32_e32 vcc_lo, 1, v18
	v_and_or_b32 v8, 0x1ff, v9, v8
	v_cndmask_b32_e32 v16, v20, v19, vcc_lo
	v_cmp_eq_u32_e32 vcc_lo, 0x40f, v15
	v_lshrrev_b32_e32 v19, 16, v11
	v_and_b32_e32 v20, 7, v16
	v_cndmask_b32_e32 v15, v6, v10, vcc_lo
	v_mul_f64 v[10:11], v[12:13], s[6:7]
	v_cvt_f64_f32_e32 v[6:7], v7
	v_cmp_ne_u32_e32 vcc_lo, 0, v8
	v_lshrrev_b32_e32 v12, 8, v9
	v_bfe_u32 v13, v9, 20, 11
	v_cmp_eq_u32_e64 s0, 3, v20
	v_lshrrev_b32_e32 v16, 2, v16
	v_cndmask_b32_e64 v8, 0, 1, vcc_lo
	v_cmp_lt_i32_e32 vcc_lo, 5, v20
	v_and_or_b32 v15, 0x8000, v19, v15
	v_and_b32_e32 v19, 0xffff, v23
	v_lshrrev_b32_e32 v9, 16, v9
	v_and_or_b32 v8, 0xffe, v12, v8
	v_sub_nc_u32_e32 v12, 0x3f1, v13
	s_or_b32 vcc_lo, s0, vcc_lo
	v_lshl_or_b32 v15, v15, 16, v19
	v_add_co_ci_u32_e32 v16, vcc_lo, 0, v16, vcc_lo
	v_or_b32_e32 v19, 0x1000, v8
	v_med3_i32 v12, v12, 0, 13
	v_cmp_ne_u32_e32 vcc_lo, 0, v2
	v_add_nc_u32_e32 v13, 0xfffffc10, v13
	v_and_or_b32 v10, 0x1ff, v11, v10
	v_mul_f64 v[6:7], v[6:7], s[6:7]
	v_lshrrev_b32_e32 v20, v12, v19
	v_cndmask_b32_e64 v2, 0, 1, vcc_lo
	v_cmp_gt_i32_e32 vcc_lo, 31, v18
	v_lshrrev_b32_e32 v21, 8, v11
	v_bfe_u32 v22, v11, 20, 11
	v_lshlrev_b32_e32 v12, v12, v20
	v_lshl_or_b32 v2, v2, 9, 0x7c00
	v_cndmask_b32_e32 v16, 0x7c00, v16, vcc_lo
	v_cmp_ne_u32_e32 vcc_lo, 0, v10
	v_lshrrev_b32_e32 v11, 16, v11
	v_cndmask_b32_e64 v10, 0, 1, vcc_lo
	v_cmp_ne_u32_e32 vcc_lo, v12, v19
	v_sub_nc_u32_e32 v19, 0x3f1, v22
	v_and_or_b32 v10, 0xffe, v21, v10
	v_cndmask_b32_e64 v12, 0, 1, vcc_lo
	v_cmp_eq_u32_e32 vcc_lo, 0x40f, v18
	v_med3_i32 v19, v19, 0, 13
	v_and_or_b32 v6, 0x1ff, v7, v6
	v_or_b32_e32 v18, 0x1000, v10
	v_or_b32_e32 v12, v20, v12
	v_cndmask_b32_e32 v2, v16, v2, vcc_lo
	v_lshl_or_b32 v16, v13, 12, v8
	v_cmp_gt_i32_e32 vcc_lo, 1, v13
	v_lshrrev_b32_e32 v20, 8, v7
	v_bfe_u32 v21, v7, 20, 11
	v_and_or_b32 v2, 0x8000, v3, v2
	v_lshrrev_b32_e32 v7, 16, v7
	v_cndmask_b32_e32 v12, v16, v12, vcc_lo
	v_lshrrev_b32_e32 v16, v19, v18
	v_cmp_ne_u32_e32 vcc_lo, 0, v6
	v_and_b32_e32 v23, 7, v12
	v_lshlrev_b32_e32 v19, v19, v16
	v_cndmask_b32_e64 v6, 0, 1, vcc_lo
	v_lshrrev_b32_e32 v12, 2, v12
	v_cmp_lt_i32_e32 vcc_lo, 5, v23
	v_cmp_ne_u32_e64 s0, v19, v18
	v_and_or_b32 v3, 0xffe, v20, v6
	v_sub_nc_u32_e32 v6, 0x3f1, v21
	v_add_nc_u32_e32 v20, 0xfffffc10, v22
	v_cndmask_b32_e64 v18, 0, 1, s0
	v_cmp_eq_u32_e64 s0, 3, v23
	v_or_b32_e32 v19, 0x1000, v3
	v_med3_i32 v6, v6, 0, 13
	v_lshl_or_b32 v22, v20, 12, v10
	v_or_b32_e32 v16, v16, v18
	s_or_b32 vcc_lo, s0, vcc_lo
	v_add_co_ci_u32_e32 v12, vcc_lo, 0, v12, vcc_lo
	v_lshrrev_b32_e32 v18, v6, v19
	v_cmp_gt_i32_e32 vcc_lo, 1, v20
	v_lshlrev_b32_e32 v6, v6, v18
	v_cndmask_b32_e32 v16, v22, v16, vcc_lo
	v_cmp_ne_u32_e32 vcc_lo, 0, v8
	v_cndmask_b32_e64 v8, 0, 1, vcc_lo
	v_cmp_ne_u32_e32 vcc_lo, v6, v19
	v_add_nc_u32_e32 v19, 0xfffffc10, v21
	v_and_b32_e32 v21, 7, v16
	v_lshl_or_b32 v8, v8, 9, 0x7c00
	v_cndmask_b32_e64 v6, 0, 1, vcc_lo
	v_cmp_gt_i32_e32 vcc_lo, 31, v13
	v_cmp_gt_i32_e64 s1, 1, v19
	v_cmp_eq_u32_e64 s0, 3, v21
	v_or_b32_e32 v6, v18, v6
	v_lshl_or_b32 v18, v19, 12, v3
	v_cndmask_b32_e32 v12, 0x7c00, v12, vcc_lo
	v_cmp_lt_i32_e32 vcc_lo, 5, v21
	v_cndmask_b32_e64 v6, v18, v6, s1
	v_cmp_eq_u32_e64 s1, 0x40f, v13
	s_or_b32 vcc_lo, s0, vcc_lo
	v_and_b32_e32 v13, 7, v6
	v_cndmask_b32_e64 v8, v12, v8, s1
	v_lshrrev_b32_e32 v12, 2, v16
	v_lshrrev_b32_e32 v6, 2, v6
	v_cmp_gt_i32_e64 s1, 31, v20
	v_cmp_eq_u32_e64 s0, 3, v13
	v_and_or_b32 v8, 0x8000, v9, v8
	v_add_co_ci_u32_e32 v12, vcc_lo, 0, v12, vcc_lo
	v_cmp_ne_u32_e32 vcc_lo, 0, v10
	v_and_b32_e32 v9, 0xffff, v2
	v_cndmask_b32_e64 v12, 0x7c00, v12, s1
	v_cndmask_b32_e64 v10, 0, 1, vcc_lo
	v_cmp_lt_i32_e32 vcc_lo, 5, v13
	v_lshl_or_b32 v10, v10, 9, 0x7c00
	s_or_b32 vcc_lo, s0, vcc_lo
	v_add_co_ci_u32_e32 v6, vcc_lo, 0, v6, vcc_lo
	v_cmp_ne_u32_e32 vcc_lo, 0, v3
	v_cndmask_b32_e64 v3, 0, 1, vcc_lo
	v_cmp_eq_u32_e32 vcc_lo, 0x40f, v20
	v_lshl_or_b32 v3, v3, 9, 0x7c00
	v_cndmask_b32_e32 v10, v12, v10, vcc_lo
	v_cmp_gt_i32_e32 vcc_lo, 31, v19
	v_and_or_b32 v10, 0x8000, v11, v10
	v_cndmask_b32_e32 v6, 0x7c00, v6, vcc_lo
	v_cmp_eq_u32_e32 vcc_lo, 0x40f, v19
	v_lshl_or_b32 v11, v8, 16, v9
	v_and_b32_e32 v9, 0xffff, v10
	v_cndmask_b32_e32 v6, v6, v3, vcc_lo
	v_add_co_u32 v2, vcc_lo, v0, s3
	v_add_co_ci_u32_e32 v3, vcc_lo, s2, v1, vcc_lo
	v_and_or_b32 v8, 0x8000, v7, v6
	v_add_co_u32 v6, vcc_lo, v2, s3
	v_add_co_ci_u32_e32 v7, vcc_lo, s2, v3, vcc_lo
	v_lshl_or_b32 v10, v8, 16, v9
	v_add_co_u32 v8, vcc_lo, v6, s3
	v_add_co_ci_u32_e32 v9, vcc_lo, s2, v7, vcc_lo
	global_store_dword v[4:5], v14, off
	global_store_dword v[0:1], v17, off
	;; [unrolled: 1-line block ×5, first 2 shown]
.LBB0_10:
	s_endpgm
	.section	.rodata,"a",@progbits
	.p2align	6, 0x0
	.amdhsa_kernel bluestein_single_back_len850_dim1_half_op_CI_CI
		.amdhsa_group_segment_fixed_size 3400
		.amdhsa_private_segment_fixed_size 0
		.amdhsa_kernarg_size 104
		.amdhsa_user_sgpr_count 6
		.amdhsa_user_sgpr_private_segment_buffer 1
		.amdhsa_user_sgpr_dispatch_ptr 0
		.amdhsa_user_sgpr_queue_ptr 0
		.amdhsa_user_sgpr_kernarg_segment_ptr 1
		.amdhsa_user_sgpr_dispatch_id 0
		.amdhsa_user_sgpr_flat_scratch_init 0
		.amdhsa_user_sgpr_private_segment_size 0
		.amdhsa_wavefront_size32 1
		.amdhsa_uses_dynamic_stack 0
		.amdhsa_system_sgpr_private_segment_wavefront_offset 0
		.amdhsa_system_sgpr_workgroup_id_x 1
		.amdhsa_system_sgpr_workgroup_id_y 0
		.amdhsa_system_sgpr_workgroup_id_z 0
		.amdhsa_system_sgpr_workgroup_info 0
		.amdhsa_system_vgpr_workitem_id 0
		.amdhsa_next_free_vgpr 237
		.amdhsa_next_free_sgpr 20
		.amdhsa_reserve_vcc 1
		.amdhsa_reserve_flat_scratch 0
		.amdhsa_float_round_mode_32 0
		.amdhsa_float_round_mode_16_64 0
		.amdhsa_float_denorm_mode_32 3
		.amdhsa_float_denorm_mode_16_64 3
		.amdhsa_dx10_clamp 1
		.amdhsa_ieee_mode 1
		.amdhsa_fp16_overflow 0
		.amdhsa_workgroup_processor_mode 1
		.amdhsa_memory_ordered 1
		.amdhsa_forward_progress 0
		.amdhsa_shared_vgpr_count 0
		.amdhsa_exception_fp_ieee_invalid_op 0
		.amdhsa_exception_fp_denorm_src 0
		.amdhsa_exception_fp_ieee_div_zero 0
		.amdhsa_exception_fp_ieee_overflow 0
		.amdhsa_exception_fp_ieee_underflow 0
		.amdhsa_exception_fp_ieee_inexact 0
		.amdhsa_exception_int_div_zero 0
	.end_amdhsa_kernel
	.text
.Lfunc_end0:
	.size	bluestein_single_back_len850_dim1_half_op_CI_CI, .Lfunc_end0-bluestein_single_back_len850_dim1_half_op_CI_CI
                                        ; -- End function
	.section	.AMDGPU.csdata,"",@progbits
; Kernel info:
; codeLenInByte = 23620
; NumSgprs: 22
; NumVgprs: 237
; ScratchSize: 0
; MemoryBound: 0
; FloatMode: 240
; IeeeMode: 1
; LDSByteSize: 3400 bytes/workgroup (compile time only)
; SGPRBlocks: 2
; VGPRBlocks: 29
; NumSGPRsForWavesPerEU: 22
; NumVGPRsForWavesPerEU: 237
; Occupancy: 4
; WaveLimiterHint : 1
; COMPUTE_PGM_RSRC2:SCRATCH_EN: 0
; COMPUTE_PGM_RSRC2:USER_SGPR: 6
; COMPUTE_PGM_RSRC2:TRAP_HANDLER: 0
; COMPUTE_PGM_RSRC2:TGID_X_EN: 1
; COMPUTE_PGM_RSRC2:TGID_Y_EN: 0
; COMPUTE_PGM_RSRC2:TGID_Z_EN: 0
; COMPUTE_PGM_RSRC2:TIDIG_COMP_CNT: 0
	.text
	.p2alignl 6, 3214868480
	.fill 48, 4, 3214868480
	.type	__hip_cuid_d7b6436b77e29d73,@object ; @__hip_cuid_d7b6436b77e29d73
	.section	.bss,"aw",@nobits
	.globl	__hip_cuid_d7b6436b77e29d73
__hip_cuid_d7b6436b77e29d73:
	.byte	0                               ; 0x0
	.size	__hip_cuid_d7b6436b77e29d73, 1

	.ident	"AMD clang version 19.0.0git (https://github.com/RadeonOpenCompute/llvm-project roc-6.4.0 25133 c7fe45cf4b819c5991fe208aaa96edf142730f1d)"
	.section	".note.GNU-stack","",@progbits
	.addrsig
	.addrsig_sym __hip_cuid_d7b6436b77e29d73
	.amdgpu_metadata
---
amdhsa.kernels:
  - .args:
      - .actual_access:  read_only
        .address_space:  global
        .offset:         0
        .size:           8
        .value_kind:     global_buffer
      - .actual_access:  read_only
        .address_space:  global
        .offset:         8
        .size:           8
        .value_kind:     global_buffer
      - .actual_access:  read_only
        .address_space:  global
        .offset:         16
        .size:           8
        .value_kind:     global_buffer
      - .actual_access:  read_only
        .address_space:  global
        .offset:         24
        .size:           8
        .value_kind:     global_buffer
      - .actual_access:  read_only
        .address_space:  global
        .offset:         32
        .size:           8
        .value_kind:     global_buffer
      - .offset:         40
        .size:           8
        .value_kind:     by_value
      - .address_space:  global
        .offset:         48
        .size:           8
        .value_kind:     global_buffer
      - .address_space:  global
        .offset:         56
        .size:           8
        .value_kind:     global_buffer
      - .address_space:  global
        .offset:         64
        .size:           8
        .value_kind:     global_buffer
      - .address_space:  global
        .offset:         72
        .size:           8
        .value_kind:     global_buffer
      - .offset:         80
        .size:           4
        .value_kind:     by_value
      - .address_space:  global
        .offset:         88
        .size:           8
        .value_kind:     global_buffer
      - .address_space:  global
        .offset:         96
        .size:           8
        .value_kind:     global_buffer
    .group_segment_fixed_size: 3400
    .kernarg_segment_align: 8
    .kernarg_segment_size: 104
    .language:       OpenCL C
    .language_version:
      - 2
      - 0
    .max_flat_workgroup_size: 85
    .name:           bluestein_single_back_len850_dim1_half_op_CI_CI
    .private_segment_fixed_size: 0
    .sgpr_count:     22
    .sgpr_spill_count: 0
    .symbol:         bluestein_single_back_len850_dim1_half_op_CI_CI.kd
    .uniform_work_group_size: 1
    .uses_dynamic_stack: false
    .vgpr_count:     237
    .vgpr_spill_count: 0
    .wavefront_size: 32
    .workgroup_processor_mode: 1
amdhsa.target:   amdgcn-amd-amdhsa--gfx1030
amdhsa.version:
  - 1
  - 2
...

	.end_amdgpu_metadata
